;; amdgpu-corpus repo=ROCm/rocFFT kind=compiled arch=gfx1030 opt=O3
	.text
	.amdgcn_target "amdgcn-amd-amdhsa--gfx1030"
	.amdhsa_code_object_version 6
	.protected	fft_rtc_back_len4000_factors_10_10_10_4_wgs_200_tpt_200_halfLds_sp_ip_CI_unitstride_sbrr_dirReg ; -- Begin function fft_rtc_back_len4000_factors_10_10_10_4_wgs_200_tpt_200_halfLds_sp_ip_CI_unitstride_sbrr_dirReg
	.globl	fft_rtc_back_len4000_factors_10_10_10_4_wgs_200_tpt_200_halfLds_sp_ip_CI_unitstride_sbrr_dirReg
	.p2align	8
	.type	fft_rtc_back_len4000_factors_10_10_10_4_wgs_200_tpt_200_halfLds_sp_ip_CI_unitstride_sbrr_dirReg,@function
fft_rtc_back_len4000_factors_10_10_10_4_wgs_200_tpt_200_halfLds_sp_ip_CI_unitstride_sbrr_dirReg: ; @fft_rtc_back_len4000_factors_10_10_10_4_wgs_200_tpt_200_halfLds_sp_ip_CI_unitstride_sbrr_dirReg
; %bb.0:
	s_clause 0x2
	s_load_dwordx4 s[8:11], s[4:5], 0x0
	s_load_dwordx2 s[2:3], s[4:5], 0x50
	s_load_dwordx2 s[12:13], s[4:5], 0x18
	v_mul_u32_u24_e32 v1, 0x148, v0
	v_mov_b32_e32 v3, 0
	v_add_nc_u32_sdwa v5, s6, v1 dst_sel:DWORD dst_unused:UNUSED_PAD src0_sel:DWORD src1_sel:WORD_1
	v_mov_b32_e32 v1, 0
	v_mov_b32_e32 v6, v3
	v_mov_b32_e32 v2, 0
	s_waitcnt lgkmcnt(0)
	v_cmp_lt_u64_e64 s0, s[10:11], 2
	s_and_b32 vcc_lo, exec_lo, s0
	s_cbranch_vccnz .LBB0_8
; %bb.1:
	s_load_dwordx2 s[0:1], s[4:5], 0x10
	v_mov_b32_e32 v1, 0
	s_add_u32 s6, s12, 8
	v_mov_b32_e32 v2, 0
	s_addc_u32 s7, s13, 0
	s_mov_b64 s[16:17], 1
	s_waitcnt lgkmcnt(0)
	s_add_u32 s14, s0, 8
	s_addc_u32 s15, s1, 0
.LBB0_2:                                ; =>This Inner Loop Header: Depth=1
	s_load_dwordx2 s[18:19], s[14:15], 0x0
                                        ; implicit-def: $vgpr7_vgpr8
	s_mov_b32 s0, exec_lo
	s_waitcnt lgkmcnt(0)
	v_or_b32_e32 v4, s19, v6
	v_cmpx_ne_u64_e32 0, v[3:4]
	s_xor_b32 s1, exec_lo, s0
	s_cbranch_execz .LBB0_4
; %bb.3:                                ;   in Loop: Header=BB0_2 Depth=1
	v_cvt_f32_u32_e32 v4, s18
	v_cvt_f32_u32_e32 v7, s19
	s_sub_u32 s0, 0, s18
	s_subb_u32 s20, 0, s19
	v_fmac_f32_e32 v4, 0x4f800000, v7
	v_rcp_f32_e32 v4, v4
	v_mul_f32_e32 v4, 0x5f7ffffc, v4
	v_mul_f32_e32 v7, 0x2f800000, v4
	v_trunc_f32_e32 v7, v7
	v_fmac_f32_e32 v4, 0xcf800000, v7
	v_cvt_u32_f32_e32 v7, v7
	v_cvt_u32_f32_e32 v4, v4
	v_mul_lo_u32 v8, s0, v7
	v_mul_hi_u32 v9, s0, v4
	v_mul_lo_u32 v10, s20, v4
	v_add_nc_u32_e32 v8, v9, v8
	v_mul_lo_u32 v9, s0, v4
	v_add_nc_u32_e32 v8, v8, v10
	v_mul_hi_u32 v10, v4, v9
	v_mul_lo_u32 v11, v4, v8
	v_mul_hi_u32 v12, v4, v8
	v_mul_hi_u32 v13, v7, v9
	v_mul_lo_u32 v9, v7, v9
	v_mul_hi_u32 v14, v7, v8
	v_mul_lo_u32 v8, v7, v8
	v_add_co_u32 v10, vcc_lo, v10, v11
	v_add_co_ci_u32_e32 v11, vcc_lo, 0, v12, vcc_lo
	v_add_co_u32 v9, vcc_lo, v10, v9
	v_add_co_ci_u32_e32 v9, vcc_lo, v11, v13, vcc_lo
	v_add_co_ci_u32_e32 v10, vcc_lo, 0, v14, vcc_lo
	v_add_co_u32 v8, vcc_lo, v9, v8
	v_add_co_ci_u32_e32 v9, vcc_lo, 0, v10, vcc_lo
	v_add_co_u32 v4, vcc_lo, v4, v8
	v_add_co_ci_u32_e32 v7, vcc_lo, v7, v9, vcc_lo
	v_mul_hi_u32 v8, s0, v4
	v_mul_lo_u32 v10, s20, v4
	v_mul_lo_u32 v9, s0, v7
	v_add_nc_u32_e32 v8, v8, v9
	v_mul_lo_u32 v9, s0, v4
	v_add_nc_u32_e32 v8, v8, v10
	v_mul_hi_u32 v10, v4, v9
	v_mul_lo_u32 v11, v4, v8
	v_mul_hi_u32 v12, v4, v8
	v_mul_hi_u32 v13, v7, v9
	v_mul_lo_u32 v9, v7, v9
	v_mul_hi_u32 v14, v7, v8
	v_mul_lo_u32 v8, v7, v8
	v_add_co_u32 v10, vcc_lo, v10, v11
	v_add_co_ci_u32_e32 v11, vcc_lo, 0, v12, vcc_lo
	v_add_co_u32 v9, vcc_lo, v10, v9
	v_add_co_ci_u32_e32 v9, vcc_lo, v11, v13, vcc_lo
	v_add_co_ci_u32_e32 v10, vcc_lo, 0, v14, vcc_lo
	v_add_co_u32 v8, vcc_lo, v9, v8
	v_add_co_ci_u32_e32 v9, vcc_lo, 0, v10, vcc_lo
	v_add_co_u32 v4, vcc_lo, v4, v8
	v_add_co_ci_u32_e32 v11, vcc_lo, v7, v9, vcc_lo
	v_mul_hi_u32 v13, v5, v4
	v_mad_u64_u32 v[9:10], null, v6, v4, 0
	v_mad_u64_u32 v[7:8], null, v5, v11, 0
	;; [unrolled: 1-line block ×3, first 2 shown]
	v_add_co_u32 v4, vcc_lo, v13, v7
	v_add_co_ci_u32_e32 v7, vcc_lo, 0, v8, vcc_lo
	v_add_co_u32 v4, vcc_lo, v4, v9
	v_add_co_ci_u32_e32 v4, vcc_lo, v7, v10, vcc_lo
	v_add_co_ci_u32_e32 v7, vcc_lo, 0, v12, vcc_lo
	v_add_co_u32 v4, vcc_lo, v4, v11
	v_add_co_ci_u32_e32 v9, vcc_lo, 0, v7, vcc_lo
	v_mul_lo_u32 v10, s19, v4
	v_mad_u64_u32 v[7:8], null, s18, v4, 0
	v_mul_lo_u32 v11, s18, v9
	v_sub_co_u32 v7, vcc_lo, v5, v7
	v_add3_u32 v8, v8, v11, v10
	v_sub_nc_u32_e32 v10, v6, v8
	v_subrev_co_ci_u32_e64 v10, s0, s19, v10, vcc_lo
	v_add_co_u32 v11, s0, v4, 2
	v_add_co_ci_u32_e64 v12, s0, 0, v9, s0
	v_sub_co_u32 v13, s0, v7, s18
	v_sub_co_ci_u32_e32 v8, vcc_lo, v6, v8, vcc_lo
	v_subrev_co_ci_u32_e64 v10, s0, 0, v10, s0
	v_cmp_le_u32_e32 vcc_lo, s18, v13
	v_cmp_eq_u32_e64 s0, s19, v8
	v_cndmask_b32_e64 v13, 0, -1, vcc_lo
	v_cmp_le_u32_e32 vcc_lo, s19, v10
	v_cndmask_b32_e64 v14, 0, -1, vcc_lo
	v_cmp_le_u32_e32 vcc_lo, s18, v7
	;; [unrolled: 2-line block ×3, first 2 shown]
	v_cndmask_b32_e64 v15, 0, -1, vcc_lo
	v_cmp_eq_u32_e32 vcc_lo, s19, v10
	v_cndmask_b32_e64 v7, v15, v7, s0
	v_cndmask_b32_e32 v10, v14, v13, vcc_lo
	v_add_co_u32 v13, vcc_lo, v4, 1
	v_add_co_ci_u32_e32 v14, vcc_lo, 0, v9, vcc_lo
	v_cmp_ne_u32_e32 vcc_lo, 0, v10
	v_cndmask_b32_e32 v8, v14, v12, vcc_lo
	v_cndmask_b32_e32 v10, v13, v11, vcc_lo
	v_cmp_ne_u32_e32 vcc_lo, 0, v7
	v_cndmask_b32_e32 v8, v9, v8, vcc_lo
	v_cndmask_b32_e32 v7, v4, v10, vcc_lo
.LBB0_4:                                ;   in Loop: Header=BB0_2 Depth=1
	s_andn2_saveexec_b32 s0, s1
	s_cbranch_execz .LBB0_6
; %bb.5:                                ;   in Loop: Header=BB0_2 Depth=1
	v_cvt_f32_u32_e32 v4, s18
	s_sub_i32 s1, 0, s18
	v_rcp_iflag_f32_e32 v4, v4
	v_mul_f32_e32 v4, 0x4f7ffffe, v4
	v_cvt_u32_f32_e32 v4, v4
	v_mul_lo_u32 v7, s1, v4
	v_mul_hi_u32 v7, v4, v7
	v_add_nc_u32_e32 v4, v4, v7
	v_mul_hi_u32 v4, v5, v4
	v_mul_lo_u32 v7, v4, s18
	v_add_nc_u32_e32 v8, 1, v4
	v_sub_nc_u32_e32 v7, v5, v7
	v_subrev_nc_u32_e32 v9, s18, v7
	v_cmp_le_u32_e32 vcc_lo, s18, v7
	v_cndmask_b32_e32 v7, v7, v9, vcc_lo
	v_cndmask_b32_e32 v4, v4, v8, vcc_lo
	v_cmp_le_u32_e32 vcc_lo, s18, v7
	v_add_nc_u32_e32 v8, 1, v4
	v_cndmask_b32_e32 v7, v4, v8, vcc_lo
	v_mov_b32_e32 v8, v3
.LBB0_6:                                ;   in Loop: Header=BB0_2 Depth=1
	s_or_b32 exec_lo, exec_lo, s0
	s_load_dwordx2 s[0:1], s[6:7], 0x0
	v_mul_lo_u32 v4, v8, s18
	v_mul_lo_u32 v11, v7, s19
	v_mad_u64_u32 v[9:10], null, v7, s18, 0
	s_add_u32 s16, s16, 1
	s_addc_u32 s17, s17, 0
	s_add_u32 s6, s6, 8
	s_addc_u32 s7, s7, 0
	;; [unrolled: 2-line block ×3, first 2 shown]
	v_add3_u32 v4, v10, v11, v4
	v_sub_co_u32 v5, vcc_lo, v5, v9
	v_sub_co_ci_u32_e32 v4, vcc_lo, v6, v4, vcc_lo
	s_waitcnt lgkmcnt(0)
	v_mul_lo_u32 v6, s1, v5
	v_mul_lo_u32 v4, s0, v4
	v_mad_u64_u32 v[1:2], null, s0, v5, v[1:2]
	v_cmp_ge_u64_e64 s0, s[16:17], s[10:11]
	s_and_b32 vcc_lo, exec_lo, s0
	v_add3_u32 v2, v6, v2, v4
	s_cbranch_vccnz .LBB0_9
; %bb.7:                                ;   in Loop: Header=BB0_2 Depth=1
	v_mov_b32_e32 v5, v7
	v_mov_b32_e32 v6, v8
	s_branch .LBB0_2
.LBB0_8:
	v_mov_b32_e32 v8, v6
	v_mov_b32_e32 v7, v5
.LBB0_9:
	s_lshl_b64 s[0:1], s[10:11], 3
	v_mul_hi_u32 v5, 0x147ae15, v0
	s_add_u32 s0, s12, s0
	s_addc_u32 s1, s13, s1
                                        ; implicit-def: $vgpr17
                                        ; implicit-def: $vgpr27
                                        ; implicit-def: $vgpr33
                                        ; implicit-def: $vgpr43
                                        ; implicit-def: $vgpr29
                                        ; implicit-def: $vgpr39
                                        ; implicit-def: $vgpr41
                                        ; implicit-def: $vgpr31
                                        ; implicit-def: $vgpr19
                                        ; implicit-def: $vgpr15
                                        ; implicit-def: $vgpr21
                                        ; implicit-def: $vgpr23
                                        ; implicit-def: $vgpr11
                                        ; implicit-def: $vgpr25
                                        ; implicit-def: $vgpr9
                                        ; implicit-def: $vgpr13
                                        ; implicit-def: $vgpr37
                                        ; implicit-def: $vgpr35
	s_load_dwordx2 s[0:1], s[0:1], 0x0
	s_load_dwordx2 s[4:5], s[4:5], 0x20
	s_waitcnt lgkmcnt(0)
	v_mul_lo_u32 v3, s0, v8
	v_mul_lo_u32 v4, s1, v7
	v_mad_u64_u32 v[1:2], null, s0, v7, v[1:2]
	v_cmp_gt_u64_e32 vcc_lo, s[4:5], v[7:8]
                                        ; implicit-def: $vgpr7
	v_add3_u32 v2, v4, v2, v3
	v_mul_u32_u24_e32 v4, 0xc8, v5
                                        ; implicit-def: $vgpr5
	v_lshlrev_b64 v[2:3], 3, v[1:2]
	v_sub_nc_u32_e32 v0, v0, v4
	s_and_saveexec_b32 s1, vcc_lo
	s_cbranch_execz .LBB0_11
; %bb.10:
	v_mov_b32_e32 v1, 0
	v_lshlrev_b64 v[4:5], 3, v[0:1]
	v_add_co_u32 v1, s0, s2, v2
	v_add_co_ci_u32_e64 v7, s0, s3, v3, s0
	v_add_co_u32 v6, s0, v1, v4
	v_add_co_ci_u32_e64 v7, s0, v7, v5, s0
	;; [unrolled: 2-line block ×8, first 2 shown]
	s_clause 0x3
	global_load_dwordx2 v[16:17], v[6:7], off
	global_load_dwordx2 v[32:33], v[8:9], off offset:256
	global_load_dwordx2 v[28:29], v[12:13], off offset:1664
	;; [unrolled: 1-line block ×3, first 2 shown]
	v_add_co_u32 v14, s0, 0x6000, v6
	v_add_co_ci_u32_e64 v15, s0, 0, v7, s0
	v_add_co_u32 v44, s0, 0x7000, v6
	v_add_co_ci_u32_e64 v45, s0, 0, v7, s0
	;; [unrolled: 2-line block ×4, first 2 shown]
	s_clause 0x7
	global_load_dwordx2 v[40:41], v[14:15], off offset:1024
	global_load_dwordx2 v[30:31], v[44:45], off offset:128
	;; [unrolled: 1-line block ×8, first 2 shown]
	v_add_co_u32 v8, s0, 0x2800, v6
	v_add_co_ci_u32_e64 v9, s0, 0, v7, s0
	v_add_co_u32 v10, s0, 0x4000, v6
	v_add_co_ci_u32_e64 v11, s0, 0, v7, s0
	v_add_co_u32 v24, s0, 0x5800, v6
	v_add_co_ci_u32_e64 v25, s0, 0, v7, s0
	v_add_co_u32 v6, s0, 0x6800, v6
	v_add_co_ci_u32_e64 v7, s0, 0, v7, s0
	s_clause 0x7
	global_load_dwordx2 v[36:37], v[22:23], off offset:1920
	global_load_dwordx2 v[22:23], v[22:23], off offset:320
	;; [unrolled: 1-line block ×8, first 2 shown]
.LBB0_11:
	s_or_b32 exec_lo, exec_lo, s1
	s_waitcnt vmcnt(11)
	v_add_f32_e32 v1, v42, v38
	v_add_f32_e32 v44, v16, v32
	v_sub_f32_e32 v45, v33, v41
	v_add_f32_e32 v49, v32, v40
	v_sub_f32_e32 v46, v43, v39
	v_fma_f32 v1, -0.5, v1, v16
	v_sub_f32_e32 v47, v32, v42
	v_sub_f32_e32 v48, v40, v38
	v_add_f32_e32 v44, v44, v42
	v_fmac_f32_e32 v16, -0.5, v49
	v_fmamk_f32 v51, v45, 0xbf737871, v1
	v_fmac_f32_e32 v1, 0x3f737871, v45
	v_add_f32_e32 v52, v17, v33
	v_sub_f32_e32 v50, v42, v32
	v_add_f32_e32 v47, v47, v48
	v_add_f32_e32 v44, v44, v38
	v_fmac_f32_e32 v51, 0xbf167918, v46
	v_sub_f32_e32 v48, v38, v40
	v_fmamk_f32 v49, v46, 0x3f737871, v16
	v_fmac_f32_e32 v1, 0x3f167918, v46
	v_add_f32_e32 v53, v43, v39
	v_fmac_f32_e32 v16, 0xbf737871, v46
	v_add_f32_e32 v46, v52, v43
	v_add_f32_e32 v44, v44, v40
	;; [unrolled: 1-line block ×3, first 2 shown]
	v_fma_f32 v50, -0.5, v53, v17
	v_sub_f32_e32 v32, v32, v40
	v_add_f32_e32 v40, v46, v39
	v_add_f32_e32 v46, v33, v41
	v_fmac_f32_e32 v51, 0x3e9e377a, v47
	v_fmac_f32_e32 v49, 0xbf167918, v45
	;; [unrolled: 1-line block ×4, first 2 shown]
	v_fmamk_f32 v45, v32, 0x3f737871, v50
	v_sub_f32_e32 v38, v42, v38
	v_sub_f32_e32 v42, v33, v43
	;; [unrolled: 1-line block ×3, first 2 shown]
	v_fmac_f32_e32 v17, -0.5, v46
	v_add_f32_e32 v46, v40, v41
	v_fmac_f32_e32 v50, 0xbf737871, v32
	v_sub_f32_e32 v33, v43, v33
	v_sub_f32_e32 v39, v39, v41
	s_waitcnt vmcnt(9)
	v_add_f32_e32 v41, v26, v34
	v_fmac_f32_e32 v45, 0x3f167918, v38
	v_add_f32_e32 v40, v42, v47
	v_fmamk_f32 v47, v38, 0xbf737871, v17
	v_fmac_f32_e32 v50, 0xbf167918, v38
	v_add_f32_e32 v33, v33, v39
	v_fmac_f32_e32 v17, 0x3f737871, v38
	v_add_f32_e32 v38, v28, v41
	s_waitcnt vmcnt(7)
	v_add_f32_e32 v39, v28, v36
	v_fmac_f32_e32 v47, 0x3f167918, v32
	v_fmac_f32_e32 v45, 0x3e9e377a, v40
	;; [unrolled: 1-line block ×3, first 2 shown]
	v_add_f32_e32 v32, v36, v38
	v_fma_f32 v38, -0.5, v39, v26
	v_add_f32_e32 v39, v30, v34
	v_fmac_f32_e32 v50, 0x3e9e377a, v40
	v_fmac_f32_e32 v47, 0x3e9e377a, v33
	v_sub_f32_e32 v40, v35, v31
	v_fmac_f32_e32 v17, 0x3e9e377a, v33
	v_add_f32_e32 v33, v30, v32
	v_sub_f32_e32 v32, v29, v37
	v_fmac_f32_e32 v26, -0.5, v39
	v_fmamk_f32 v39, v40, 0xbf737871, v38
	v_fmac_f32_e32 v38, 0x3f737871, v40
	v_fmac_f32_e32 v49, 0x3e9e377a, v48
	;; [unrolled: 1-line block ×3, first 2 shown]
	v_fmamk_f32 v43, v32, 0x3f737871, v26
	v_fmac_f32_e32 v26, 0xbf737871, v32
	v_sub_f32_e32 v41, v34, v28
	v_sub_f32_e32 v42, v30, v36
	;; [unrolled: 1-line block ×4, first 2 shown]
	v_fmac_f32_e32 v39, 0xbf167918, v32
	v_fmac_f32_e32 v38, 0x3f167918, v32
	;; [unrolled: 1-line block ×3, first 2 shown]
	v_add_f32_e32 v32, v29, v37
	v_fmac_f32_e32 v26, 0x3f167918, v40
	v_add_f32_e32 v40, v31, v35
	v_add_f32_e32 v41, v42, v41
	v_add_f32_e32 v42, v52, v48
	v_fma_f32 v32, -0.5, v32, v27
	v_sub_f32_e32 v30, v34, v30
	v_add_f32_e32 v34, v27, v35
	v_sub_f32_e32 v28, v28, v36
	v_fmac_f32_e32 v27, -0.5, v40
	v_fmac_f32_e32 v39, 0x3e9e377a, v41
	v_fmac_f32_e32 v38, 0x3e9e377a, v41
	;; [unrolled: 1-line block ×4, first 2 shown]
	v_fmamk_f32 v36, v30, 0x3f737871, v32
	v_sub_f32_e32 v40, v35, v29
	v_sub_f32_e32 v41, v31, v37
	v_fmamk_f32 v42, v28, 0xbf737871, v27
	v_sub_f32_e32 v35, v29, v35
	v_sub_f32_e32 v48, v37, v31
	v_fmac_f32_e32 v36, 0x3f167918, v28
	v_add_f32_e32 v40, v41, v40
	v_fmac_f32_e32 v42, 0x3f167918, v30
	v_fmac_f32_e32 v32, 0xbf737871, v30
	v_add_f32_e32 v35, v48, v35
	v_fmac_f32_e32 v27, 0x3f737871, v28
	;; [unrolled: 3-line block ×3, first 2 shown]
	v_fmac_f32_e32 v42, 0x3e9e377a, v35
	v_fmac_f32_e32 v27, 0xbf167918, v30
	v_mul_f32_e32 v41, 0xbf167918, v36
	v_mul_f32_e32 v55, 0x3f4f1bbd, v36
	v_fmac_f32_e32 v32, 0x3e9e377a, v40
	v_mul_f32_e32 v48, 0xbf737871, v42
	v_fmac_f32_e32 v27, 0x3e9e377a, v35
	v_add_f32_e32 v28, v37, v29
	v_fmac_f32_e32 v41, 0x3f4f1bbd, v39
	v_mul_f32_e32 v54, 0xbf167918, v32
	v_fmac_f32_e32 v48, 0x3e9e377a, v43
	v_mul_f32_e32 v43, 0x3f737871, v43
	v_fmac_f32_e32 v55, 0x3f167918, v39
	s_waitcnt vmcnt(6)
	v_add_f32_e32 v39, v20, v22
	v_mul_f32_e32 v52, 0xbf737871, v27
	v_add_f32_e32 v53, v31, v28
	v_add_f32_e32 v28, v44, v33
	;; [unrolled: 1-line block ×3, first 2 shown]
	v_fmac_f32_e32 v54, 0xbf4f1bbd, v38
	v_mul_f32_e32 v56, 0xbe9e377a, v27
	v_mul_f32_e32 v57, 0xbf4f1bbd, v32
	v_fmac_f32_e32 v43, 0x3e9e377a, v42
	v_sub_f32_e32 v33, v44, v33
	v_sub_f32_e32 v27, v49, v48
	v_fma_f32 v44, -0.5, v39, v4
	s_waitcnt vmcnt(2)
	v_sub_f32_e32 v48, v19, v25
	v_fmac_f32_e32 v52, 0xbe9e377a, v26
	v_add_f32_e32 v29, v51, v41
	v_add_f32_e32 v32, v1, v54
	v_fmac_f32_e32 v56, 0x3f737871, v26
	v_fmac_f32_e32 v57, 0x3f167918, v38
	v_add_f32_e32 v34, v46, v53
	v_add_f32_e32 v35, v45, v55
	;; [unrolled: 1-line block ×3, first 2 shown]
	v_sub_f32_e32 v26, v51, v41
	v_sub_f32_e32 v41, v1, v54
	v_add_f32_e32 v1, v4, v18
	v_sub_f32_e32 v39, v46, v53
	v_sub_f32_e32 v42, v45, v55
	;; [unrolled: 1-line block ×3, first 2 shown]
	v_fmamk_f32 v45, v48, 0xbf737871, v44
	v_sub_f32_e32 v46, v21, v23
	v_sub_f32_e32 v47, v18, v20
	;; [unrolled: 1-line block ×3, first 2 shown]
	v_add_f32_e32 v51, v18, v24
	v_fmac_f32_e32 v44, 0x3f737871, v48
	v_add_f32_e32 v31, v16, v52
	v_add_f32_e32 v37, v17, v56
	;; [unrolled: 1-line block ×3, first 2 shown]
	v_sub_f32_e32 v40, v16, v52
	v_add_f32_e32 v1, v1, v20
	v_sub_f32_e32 v16, v17, v56
	v_fmac_f32_e32 v45, 0xbf167918, v46
	v_add_f32_e32 v47, v47, v49
	v_fmac_f32_e32 v4, -0.5, v51
	v_sub_f32_e32 v17, v50, v57
	v_sub_f32_e32 v50, v20, v18
	;; [unrolled: 1-line block ×3, first 2 shown]
	v_fmac_f32_e32 v44, 0x3f167918, v46
	v_add_f32_e32 v52, v5, v19
	v_add_f32_e32 v53, v21, v23
	v_add_f32_e32 v1, v1, v22
	v_fmac_f32_e32 v45, 0x3e9e377a, v47
	v_fmamk_f32 v49, v46, 0x3f737871, v4
	v_add_f32_e32 v50, v50, v51
	v_fmac_f32_e32 v4, 0xbf737871, v46
	v_add_f32_e32 v46, v52, v21
	v_fma_f32 v51, -0.5, v53, v5
	v_sub_f32_e32 v18, v18, v24
	v_fmac_f32_e32 v44, 0x3e9e377a, v47
	v_add_f32_e32 v47, v19, v25
	v_add_f32_e32 v1, v1, v24
	v_fmac_f32_e32 v49, 0xbf167918, v48
	v_fmac_f32_e32 v4, 0x3f167918, v48
	v_add_f32_e32 v24, v46, v23
	v_fmamk_f32 v46, v18, 0x3f737871, v51
	v_sub_f32_e32 v20, v20, v22
	v_sub_f32_e32 v22, v19, v21
	;; [unrolled: 1-line block ×3, first 2 shown]
	v_fmac_f32_e32 v5, -0.5, v47
	v_fmac_f32_e32 v51, 0xbf737871, v18
	v_sub_f32_e32 v19, v21, v19
	v_sub_f32_e32 v21, v23, v25
	s_waitcnt vmcnt(1)
	v_add_f32_e32 v23, v14, v6
	v_fmac_f32_e32 v46, 0x3f167918, v20
	v_add_f32_e32 v22, v22, v48
	v_fmamk_f32 v48, v20, 0xbf737871, v5
	v_fmac_f32_e32 v51, 0xbf167918, v20
	v_add_f32_e32 v19, v19, v21
	v_fmac_f32_e32 v5, 0x3f737871, v20
	v_add_f32_e32 v20, v12, v23
	v_add_f32_e32 v21, v10, v12
	v_fmac_f32_e32 v46, 0x3e9e377a, v22
	v_fmac_f32_e32 v48, 0x3f167918, v18
	;; [unrolled: 1-line block ×4, first 2 shown]
	v_add_f32_e32 v18, v10, v20
	v_fma_f32 v20, -0.5, v21, v6
	s_waitcnt vmcnt(0)
	v_add_f32_e32 v21, v14, v8
	v_sub_f32_e32 v22, v15, v9
	v_add_f32_e32 v47, v24, v25
	v_fmac_f32_e32 v48, 0x3e9e377a, v19
	v_fmac_f32_e32 v5, 0x3e9e377a, v19
	v_add_f32_e32 v23, v8, v18
	v_sub_f32_e32 v18, v13, v11
	v_fmac_f32_e32 v6, -0.5, v21
	v_fmamk_f32 v19, v22, 0xbf737871, v20
	v_sub_f32_e32 v21, v14, v12
	v_sub_f32_e32 v24, v8, v10
	v_fmac_f32_e32 v20, 0x3f737871, v22
	v_fmac_f32_e32 v49, 0x3e9e377a, v50
	;; [unrolled: 1-line block ×4, first 2 shown]
	v_add_f32_e32 v21, v24, v21
	v_fmac_f32_e32 v20, 0x3f167918, v18
	v_fmamk_f32 v25, v18, 0x3f737871, v6
	v_sub_f32_e32 v50, v12, v14
	v_sub_f32_e32 v52, v10, v8
	v_fmac_f32_e32 v6, 0xbf737871, v18
	v_fmac_f32_e32 v19, 0x3e9e377a, v21
	v_add_f32_e32 v18, v11, v13
	v_fmac_f32_e32 v20, 0x3e9e377a, v21
	v_add_f32_e32 v21, v15, v9
	;; [unrolled: 2-line block ×3, first 2 shown]
	v_fmac_f32_e32 v6, 0x3f167918, v22
	v_fma_f32 v18, -0.5, v18, v7
	v_sub_f32_e32 v8, v14, v8
	v_add_f32_e32 v14, v15, v7
	v_sub_f32_e32 v10, v12, v10
	v_fmac_f32_e32 v7, -0.5, v21
	v_fmac_f32_e32 v25, 0x3e9e377a, v24
	v_fmac_f32_e32 v6, 0x3e9e377a, v24
	v_sub_f32_e32 v12, v15, v13
	v_sub_f32_e32 v15, v13, v15
	v_fmamk_f32 v24, v10, 0xbf737871, v7
	v_sub_f32_e32 v50, v11, v9
	v_fmamk_f32 v21, v8, 0x3f737871, v18
	v_sub_f32_e32 v22, v9, v11
	v_fmac_f32_e32 v7, 0x3f737871, v10
	v_fmac_f32_e32 v24, 0x3f167918, v8
	v_add_f32_e32 v15, v50, v15
	v_fmac_f32_e32 v18, 0xbf737871, v8
	v_fmac_f32_e32 v21, 0x3f167918, v10
	v_add_f32_e32 v12, v22, v12
	v_fmac_f32_e32 v7, 0xbf167918, v8
	v_add_f32_e32 v8, v13, v14
	v_fmac_f32_e32 v24, 0x3e9e377a, v15
	v_fmac_f32_e32 v18, 0xbf167918, v10
	;; [unrolled: 1-line block ×4, first 2 shown]
	v_add_f32_e32 v8, v11, v8
	v_mul_f32_e32 v11, 0xbf737871, v24
	v_fmac_f32_e32 v18, 0x3e9e377a, v12
	v_mul_f32_e32 v10, 0xbf167918, v21
	v_mul_f32_e32 v50, 0xbf737871, v7
	v_add_f32_e32 v52, v9, v8
	v_fmac_f32_e32 v11, 0x3e9e377a, v25
	v_add_f32_e32 v8, v1, v23
	v_sub_f32_e32 v15, v1, v23
	v_mul_u32_u24_e32 v1, 10, v0
	v_mul_f32_e32 v53, 0xbf167918, v18
	v_fmac_f32_e32 v10, 0x3f4f1bbd, v19
	v_fmac_f32_e32 v50, 0xbe9e377a, v6
	v_add_f32_e32 v12, v49, v11
	v_mul_f32_e32 v56, 0xbe9e377a, v7
	v_sub_f32_e32 v7, v49, v11
	v_lshl_add_u32 v49, v1, 2, 0
	v_fmac_f32_e32 v53, 0xbf4f1bbd, v20
	v_mul_f32_e32 v55, 0x3f737871, v25
	v_add_f32_e32 v9, v45, v10
	v_add_f32_e32 v13, v4, v50
	ds_write2_b64 v49, v[28:29], v[30:31] offset1:1
	ds_write2_b64 v49, v[32:33], v[26:27] offset0:2 offset1:3
	v_add_nc_u32_e32 v32, 0x1f40, v49
	v_add_f32_e32 v14, v44, v53
	v_fmac_f32_e32 v56, 0x3f737871, v6
	v_sub_f32_e32 v6, v45, v10
	v_add_nc_u32_e32 v33, 0x1f50, v49
	v_fmac_f32_e32 v55, 0x3e9e377a, v24
	v_sub_f32_e32 v24, v4, v50
	v_sub_f32_e32 v25, v44, v53
	ds_write_b64 v49, v[40:41] offset:32
	ds_write2_b64 v32, v[8:9], v[12:13] offset1:1
	ds_write2_b64 v33, v[14:15], v[6:7] offset1:1
	ds_write_b64 v49, v[24:25] offset:8032
	v_and_b32_e32 v6, 0xff, v0
	v_add_nc_u32_e32 v11, 0xc8, v0
	v_mov_b32_e32 v7, 0xcccd
	v_mul_f32_e32 v54, 0x3f167918, v19
	v_mul_f32_e32 v57, 0xbf4f1bbd, v18
	v_mul_lo_u16 v6, 0xcd, v6
	v_mad_i32_i24 v1, 0xffffffdc, v0, v49
	v_mul_u32_u24_sdwa v7, v11, v7 dst_sel:DWORD dst_unused:UNUSED_PAD src0_sel:WORD_0 src1_sel:DWORD
	v_mov_b32_e32 v12, 9
	v_fmac_f32_e32 v54, 0x3f4f1bbd, v21
	v_lshrrev_b16 v6, 11, v6
	v_fmac_f32_e32 v57, 0x3f167918, v20
	v_lshrrev_b32_e32 v7, 19, v7
	v_add_nc_u32_e32 v25, 0x1200, v1
	v_add_nc_u32_e32 v28, 0x2500, v1
	v_mul_lo_u16 v8, v6, 10
	v_add_nc_u32_e32 v30, 0x2b00, v1
	v_add_nc_u32_e32 v10, 0x600, v1
	;; [unrolled: 1-line block ×4, first 2 shown]
	v_sub_nc_u16 v8, v0, v8
	v_add_nc_u32_e32 v26, 0xc00, v1
	v_add_nc_u32_e32 v24, 0x1f00, v1
	;; [unrolled: 1-line block ×3, first 2 shown]
	v_mul_lo_u16 v9, v7, 10
	v_mul_u32_u24_sdwa v13, v8, v12 dst_sel:DWORD dst_unused:UNUSED_PAD src0_sel:BYTE_0 src1_sel:DWORD
	v_add_f32_e32 v18, v47, v52
	v_add_f32_e32 v19, v46, v54
	v_add_f32_e32 v20, v48, v55
	v_add_f32_e32 v21, v5, v56
	v_add_f32_e32 v22, v51, v57
	v_sub_f32_e32 v23, v47, v52
	v_sub_f32_e32 v44, v46, v54
	;; [unrolled: 1-line block ×5, first 2 shown]
	s_waitcnt lgkmcnt(0)
	s_barrier
	buffer_gl0_inv
	ds_read2_b32 v[4:5], v1 offset1:200
	ds_read2_b32 v[40:41], v10 offset0:16 offset1:216
	ds_read2_b32 v[54:55], v26 offset0:32 offset1:232
	;; [unrolled: 1-line block ×3, first 2 shown]
	ds_read2_b32 v[71:72], v27 offset1:200
	ds_read2_b32 v[73:74], v24 offset0:16 offset1:216
	ds_read2_b32 v[75:76], v28 offset0:32 offset1:232
	;; [unrolled: 1-line block ×3, first 2 shown]
	ds_read2_b32 v[79:80], v29 offset1:200
	ds_read2_b32 v[81:82], v31 offset0:16 offset1:216
	s_waitcnt lgkmcnt(0)
	s_barrier
	buffer_gl0_inv
	ds_write2_b64 v49, v[34:35], v[36:37] offset1:1
	ds_write2_b64 v49, v[38:39], v[42:43] offset0:2 offset1:3
	ds_write_b64 v49, v[16:17] offset:32
	v_lshlrev_b32_e32 v17, 3, v13
	v_sub_nc_u16 v9, v11, v9
	ds_write2_b64 v32, v[18:19], v[20:21] offset1:1
	ds_write2_b64 v33, v[22:23], v[44:45] offset1:1
	ds_write_b64 v49, v[46:47] offset:8032
	s_waitcnt lgkmcnt(0)
	s_barrier
	buffer_gl0_inv
	global_load_dwordx4 v[13:16], v17, s[8:9]
	v_mul_u32_u24_sdwa v18, v9, v12 dst_sel:DWORD dst_unused:UNUSED_PAD src0_sel:WORD_0 src1_sel:DWORD
	v_cmp_gt_u32_e64 s0, 0x64, v0
	v_lshlrev_b32_e32 v18, 3, v18
	s_clause 0x8
	global_load_dwordx4 v[19:22], v18, s[8:9]
	global_load_dwordx4 v[32:35], v17, s[8:9] offset:16
	global_load_dwordx4 v[44:47], v18, s[8:9] offset:16
	;; [unrolled: 1-line block ×6, first 2 shown]
	global_load_dwordx2 v[83:84], v17, s[8:9] offset:64
	global_load_dwordx2 v[85:86], v18, s[8:9] offset:64
	ds_read2_b32 v[17:18], v10 offset0:16 offset1:216
	ds_read2_b32 v[38:39], v26 offset0:32 offset1:232
	;; [unrolled: 1-line block ×3, first 2 shown]
	ds_read2_b32 v[89:90], v27 offset1:200
	ds_read2_b32 v[91:92], v28 offset0:32 offset1:232
	s_waitcnt vmcnt(9) lgkmcnt(4)
	v_mul_f32_e32 v37, v17, v14
	v_mul_f32_e32 v14, v40, v14
	s_waitcnt lgkmcnt(3)
	v_mul_f32_e32 v53, v38, v16
	v_mul_f32_e32 v16, v54, v16
	s_waitcnt vmcnt(7) lgkmcnt(2)
	v_mul_f32_e32 v43, v87, v33
	v_fmac_f32_e32 v37, v40, v13
	v_fma_f32 v40, v17, v13, -v14
	v_mul_f32_e32 v14, v41, v20
	v_fma_f32 v52, v38, v15, -v16
	ds_read2_b32 v[16:17], v24 offset0:16 offset1:216
	v_mul_f32_e32 v13, v18, v20
	v_mul_f32_e32 v20, v39, v22
	v_fma_f32 v14, v18, v19, -v14
	v_mul_f32_e32 v18, v56, v33
	v_fmac_f32_e32 v53, v54, v15
	v_fmac_f32_e32 v13, v41, v19
	v_mul_f32_e32 v15, v55, v22
	v_fmac_f32_e32 v20, v55, v21
	s_waitcnt lgkmcnt(2)
	v_mul_f32_e32 v55, v89, v35
	v_fmac_f32_e32 v43, v56, v32
	v_fma_f32 v41, v87, v32, -v18
	s_waitcnt vmcnt(6)
	v_mul_f32_e32 v32, v90, v47
	v_mul_f32_e32 v22, v71, v35
	v_fma_f32 v19, v39, v21, -v15
	v_fmac_f32_e32 v55, v71, v34
	v_mul_f32_e32 v21, v72, v47
	ds_read2_b32 v[38:39], v30 offset0:48 offset1:248
	v_fmac_f32_e32 v32, v72, v46
	ds_read2_b32 v[71:72], v29 offset1:200
	v_fma_f32 v54, v89, v34, -v22
	v_mul_f32_e32 v18, v88, v45
	v_mul_f32_e32 v15, v57, v45
	v_fma_f32 v23, v90, v46, -v21
	s_waitcnt vmcnt(5) lgkmcnt(2)
	v_mul_f32_e32 v45, v16, v49
	v_mul_f32_e32 v22, v73, v49
	s_waitcnt vmcnt(4)
	v_mul_f32_e32 v21, v17, v60
	v_fmac_f32_e32 v18, v57, v44
	v_fma_f32 v15, v88, v44, -v15
	v_mul_f32_e32 v33, v75, v51
	v_fmac_f32_e32 v45, v73, v48
	v_fma_f32 v44, v16, v48, -v22
	v_fmac_f32_e32 v21, v74, v59
	v_mul_f32_e32 v16, v74, v60
	ds_read2_b32 v[73:74], v31 offset0:16 offset1:216
	v_fma_f32 v56, v91, v50, -v33
	s_waitcnt vmcnt(3)
	v_mul_f32_e32 v33, v77, v64
	v_mul_f32_e32 v58, v91, v51
	;; [unrolled: 1-line block ×3, first 2 shown]
	s_waitcnt lgkmcnt(1)
	v_mul_f32_e32 v60, v71, v66
	v_mul_f32_e32 v36, v92, v62
	v_fma_f32 v46, v38, v63, -v33
	s_waitcnt vmcnt(2)
	v_mul_f32_e32 v33, v39, v68
	v_fmac_f32_e32 v58, v75, v50
	v_mul_f32_e32 v47, v38, v64
	v_fma_f32 v16, v17, v59, -v16
	v_fma_f32 v34, v92, v61, -v22
	v_mul_f32_e32 v17, v79, v66
	v_mul_f32_e32 v22, v78, v68
	;; [unrolled: 1-line block ×3, first 2 shown]
	v_fmac_f32_e32 v60, v79, v65
	v_fmac_f32_e32 v33, v78, v67
	v_mul_f32_e32 v35, v80, v70
	v_fmac_f32_e32 v36, v76, v61
	v_fma_f32 v59, v71, v65, -v17
	v_fma_f32 v17, v39, v67, -v22
	v_fmac_f32_e32 v38, v80, v69
	s_waitcnt vmcnt(0) lgkmcnt(0)
	v_mul_f32_e32 v22, v74, v86
	v_fma_f32 v39, v72, v69, -v35
	v_mul_f32_e32 v35, v82, v86
	v_sub_f32_e32 v57, v53, v55
	v_sub_f32_e32 v61, v60, v58
	v_add_f32_e32 v62, v21, v33
	v_mul_f32_e32 v42, v81, v84
	v_fmac_f32_e32 v22, v82, v85
	v_fma_f32 v35, v74, v85, -v35
	v_add_f32_e32 v65, v57, v61
	v_add_f32_e32 v57, v32, v36
	;; [unrolled: 1-line block ×3, first 2 shown]
	v_fma_f32 v71, -0.5, v62, v13
	v_add_f32_e32 v62, v16, v17
	v_mul_f32_e32 v51, v73, v84
	v_fma_f32 v50, v73, v83, -v42
	v_fma_f32 v57, -0.5, v57, v5
	v_add_f32_e32 v68, v5, v20
	v_fmac_f32_e32 v5, -0.5, v61
	v_add_f32_e32 v61, v18, v22
	v_sub_f32_e32 v73, v21, v18
	v_sub_f32_e32 v74, v33, v22
	v_fma_f32 v76, -0.5, v62, v14
	v_sub_f32_e32 v62, v16, v15
	v_sub_f32_e32 v78, v17, v35
	v_add_f32_e32 v48, v55, v58
	v_add_f32_e32 v72, v13, v18
	v_fmac_f32_e32 v13, -0.5, v61
	v_add_f32_e32 v73, v73, v74
	v_add_f32_e32 v74, v62, v78
	ds_read2_b32 v[61:62], v1 offset1:200
	v_fmac_f32_e32 v47, v77, v63
	v_fma_f32 v42, -0.5, v48, v4
	v_sub_f32_e32 v63, v52, v59
	v_add_f32_e32 v49, v53, v60
	v_sub_f32_e32 v64, v54, v56
	v_sub_f32_e32 v67, v55, v53
	v_add_f32_e32 v75, v15, v35
	v_fmamk_f32 v48, v63, 0xbf737871, v42
	v_fmac_f32_e32 v42, 0x3f737871, v63
	v_fma_f32 v49, -0.5, v49, v4
	v_add_f32_e32 v4, v4, v53
	v_sub_f32_e32 v86, v58, v60
	v_fmac_f32_e32 v48, 0xbf167918, v64
	v_fmac_f32_e32 v42, 0x3f167918, v64
	v_fmamk_f32 v66, v64, 0x3f737871, v49
	v_fmac_f32_e32 v49, 0xbf737871, v64
	v_add_f32_e32 v4, v4, v55
	v_add_f32_e32 v77, v14, v15
	v_fmac_f32_e32 v14, -0.5, v75
	v_sub_f32_e32 v75, v21, v33
	v_add_f32_e32 v64, v67, v86
	v_fmac_f32_e32 v66, 0xbf167918, v63
	v_fmac_f32_e32 v49, 0x3f167918, v63
	;; [unrolled: 1-line block ×3, first 2 shown]
	v_add_f32_e32 v4, v4, v58
	v_fmac_f32_e32 v42, 0x3e9e377a, v65
	s_waitcnt lgkmcnt(0)
	v_add_f32_e32 v65, v61, v52
	v_sub_f32_e32 v78, v16, v17
	v_fmamk_f32 v79, v75, 0xbf737871, v14
	v_fmac_f32_e32 v14, 0x3f737871, v75
	v_sub_f32_e32 v80, v18, v22
	v_fmac_f32_e32 v66, 0x3e9e377a, v64
	v_fmac_f32_e32 v49, 0x3e9e377a, v64
	v_add_f32_e32 v4, v4, v60
	v_add_f32_e32 v64, v54, v56
	v_sub_f32_e32 v53, v53, v60
	v_add_f32_e32 v60, v65, v54
	v_fmac_f32_e32 v51, v81, v83
	v_sub_f32_e32 v81, v23, v34
	v_fmamk_f32 v82, v78, 0x3f737871, v13
	v_fmac_f32_e32 v13, 0xbf737871, v78
	v_sub_f32_e32 v83, v15, v35
	v_fmac_f32_e32 v14, 0xbf167918, v80
	v_sub_f32_e32 v65, v52, v54
	v_sub_f32_e32 v67, v59, v56
	v_fma_f32 v64, -0.5, v64, v61
	v_sub_f32_e32 v55, v55, v58
	v_add_f32_e32 v58, v60, v56
	v_add_f32_e32 v60, v52, v59
	v_sub_f32_e32 v69, v32, v20
	v_sub_f32_e32 v70, v36, v38
	v_fmamk_f32 v84, v81, 0x3f737871, v5
	v_fmac_f32_e32 v5, 0xbf737871, v81
	v_sub_f32_e32 v85, v19, v39
	v_fmac_f32_e32 v13, 0x3f167918, v83
	v_fmac_f32_e32 v14, 0x3e9e377a, v74
	v_add_f32_e32 v65, v65, v67
	v_fmamk_f32 v67, v53, 0x3f737871, v64
	v_fmac_f32_e32 v64, 0xbf737871, v53
	v_fma_f32 v60, -0.5, v60, v61
	v_sub_f32_e32 v52, v54, v52
	v_sub_f32_e32 v54, v56, v59
	v_add_f32_e32 v69, v69, v70
	v_fmac_f32_e32 v5, 0x3f167918, v85
	v_fmac_f32_e32 v13, 0x3e9e377a, v73
	v_mul_f32_e32 v70, 0xbf737871, v14
	v_add_f32_e32 v58, v58, v59
	v_fmac_f32_e32 v67, 0x3f167918, v55
	v_fmac_f32_e32 v64, 0xbf167918, v55
	v_fmamk_f32 v56, v55, 0xbf737871, v60
	v_fmac_f32_e32 v60, 0x3f737871, v55
	v_add_f32_e32 v52, v52, v54
	v_sub_f32_e32 v54, v43, v45
	v_sub_f32_e32 v59, v51, v47
	v_fmac_f32_e32 v5, 0x3e9e377a, v69
	v_fmac_f32_e32 v70, 0xbe9e377a, v13
	;; [unrolled: 1-line block ×4, first 2 shown]
	v_add_f32_e32 v55, v45, v47
	v_fmac_f32_e32 v56, 0x3f167918, v53
	v_add_f32_e32 v65, v43, v51
	v_fmac_f32_e32 v60, 0xbf167918, v53
	v_add_f32_e32 v53, v54, v59
	v_add_f32_e32 v54, v37, v43
	;; [unrolled: 1-line block ×3, first 2 shown]
	v_sub_f32_e32 v5, v5, v70
	v_fma_f32 v55, -0.5, v55, v37
	v_sub_f32_e32 v61, v41, v50
	v_sub_f32_e32 v70, v44, v46
	v_fmac_f32_e32 v37, -0.5, v65
	v_add_f32_e32 v54, v54, v45
	v_sub_f32_e32 v65, v45, v43
	v_fmamk_f32 v59, v61, 0xbf737871, v55
	v_fmac_f32_e32 v55, 0x3f737871, v61
	v_sub_f32_e32 v86, v47, v51
	v_fmamk_f32 v87, v70, 0x3f737871, v37
	v_fmac_f32_e32 v37, 0xbf737871, v70
	v_fmac_f32_e32 v56, 0x3e9e377a, v52
	;; [unrolled: 1-line block ×3, first 2 shown]
	v_add_f32_e32 v52, v54, v47
	v_fmac_f32_e32 v59, 0xbf167918, v70
	v_fmac_f32_e32 v55, 0x3f167918, v70
	v_add_f32_e32 v65, v65, v86
	v_fmac_f32_e32 v87, 0xbf167918, v61
	v_fmac_f32_e32 v37, 0x3f167918, v61
	v_add_f32_e32 v52, v52, v51
	v_sub_f32_e32 v43, v43, v51
	v_add_f32_e32 v51, v44, v46
	v_add_f32_e32 v61, v41, v50
	v_fmac_f32_e32 v59, 0x3e9e377a, v53
	v_fmac_f32_e32 v55, 0x3e9e377a, v53
	;; [unrolled: 1-line block ×4, first 2 shown]
	v_sub_f32_e32 v53, v41, v44
	v_sub_f32_e32 v54, v50, v46
	v_add_f32_e32 v65, v40, v41
	v_fma_f32 v51, -0.5, v51, v40
	v_sub_f32_e32 v45, v45, v47
	v_fmac_f32_e32 v40, -0.5, v61
	v_add_f32_e32 v47, v53, v54
	v_add_f32_e32 v53, v65, v44
	v_fmamk_f32 v54, v43, 0x3f737871, v51
	v_sub_f32_e32 v41, v44, v41
	v_sub_f32_e32 v44, v46, v50
	v_fmamk_f32 v61, v45, 0xbf737871, v40
	v_fmac_f32_e32 v51, 0xbf737871, v43
	v_fmac_f32_e32 v40, 0x3f737871, v45
	v_add_f32_e32 v46, v53, v46
	v_add_f32_e32 v41, v41, v44
	v_fmac_f32_e32 v61, 0x3f167918, v43
	v_fmac_f32_e32 v51, 0xbf167918, v45
	;; [unrolled: 1-line block ×4, first 2 shown]
	v_add_f32_e32 v44, v46, v50
	v_fmac_f32_e32 v61, 0x3e9e377a, v41
	v_fmac_f32_e32 v51, 0x3e9e377a, v47
	;; [unrolled: 1-line block ×4, first 2 shown]
	v_sub_f32_e32 v65, v39, v34
	v_mul_f32_e32 v41, 0x3e9e377a, v61
	v_mul_f32_e32 v50, 0xbf167918, v51
	;; [unrolled: 1-line block ×5, first 2 shown]
	v_fmac_f32_e32 v41, 0x3f737871, v87
	v_fmac_f32_e32 v50, 0xbf4f1bbd, v55
	;; [unrolled: 1-line block ×3, first 2 shown]
	v_mul_f32_e32 v40, 0xbe9e377a, v40
	v_mul_f32_e32 v51, 0xbf4f1bbd, v51
	v_add_f32_e32 v54, v58, v44
	v_sub_f32_e32 v44, v58, v44
	v_add_f32_e32 v53, v49, v47
	v_sub_f32_e32 v47, v49, v47
	;; [unrolled: 2-line block ×4, first 2 shown]
	v_sub_f32_e32 v50, v20, v32
	v_sub_f32_e32 v56, v38, v36
	v_mul_f32_e32 v46, 0xbf737871, v61
	v_fmac_f32_e32 v40, 0x3f737871, v37
	v_fmac_f32_e32 v51, 0x3f167918, v55
	v_fmamk_f32 v61, v85, 0xbf737871, v57
	v_fmac_f32_e32 v57, 0x3f737871, v85
	v_add_f32_e32 v50, v50, v56
	v_add_f32_e32 v56, v68, v32
	v_fmac_f32_e32 v43, 0x3f4f1bbd, v59
	v_fmac_f32_e32 v45, 0x3f167918, v59
	v_add_f32_e32 v59, v60, v40
	v_sub_f32_e32 v40, v60, v40
	v_fmac_f32_e32 v61, 0xbf167918, v81
	v_fmac_f32_e32 v57, 0x3f167918, v81
	v_add_f32_e32 v60, v64, v51
	v_add_f32_e32 v56, v56, v36
	v_sub_f32_e32 v51, v64, v51
	v_add_f32_e32 v64, v23, v34
	v_fmac_f32_e32 v61, 0x3e9e377a, v50
	v_fmac_f32_e32 v57, 0x3e9e377a, v50
	v_add_f32_e32 v50, v56, v38
	v_sub_f32_e32 v20, v20, v38
	v_sub_f32_e32 v38, v19, v23
	v_fma_f32 v64, -0.5, v64, v62
	v_sub_f32_e32 v32, v32, v36
	v_add_f32_e32 v36, v19, v39
	v_add_f32_e32 v56, v62, v19
	;; [unrolled: 1-line block ×3, first 2 shown]
	v_fmamk_f32 v65, v20, 0x3f737871, v64
	v_fmac_f32_e32 v64, 0xbf737871, v20
	v_fmac_f32_e32 v62, -0.5, v36
	v_add_f32_e32 v56, v56, v23
	v_sub_f32_e32 v18, v18, v21
	v_fmac_f32_e32 v65, 0x3f167918, v32
	v_fmac_f32_e32 v64, 0xbf167918, v32
	v_fmamk_f32 v36, v32, 0xbf737871, v62
	v_fmac_f32_e32 v62, 0x3f737871, v32
	v_add_f32_e32 v32, v72, v21
	v_sub_f32_e32 v21, v22, v33
	v_add_f32_e32 v56, v56, v34
	v_sub_f32_e32 v19, v23, v19
	v_sub_f32_e32 v34, v34, v39
	v_fmac_f32_e32 v36, 0x3f167918, v20
	v_fmac_f32_e32 v62, 0xbf167918, v20
	v_add_f32_e32 v20, v32, v33
	v_add_f32_e32 v18, v18, v21
	v_sub_f32_e32 v15, v15, v16
	v_sub_f32_e32 v21, v35, v17
	v_fmamk_f32 v32, v80, 0x3f737871, v76
	v_fmac_f32_e32 v76, 0xbf737871, v80
	v_add_f32_e32 v19, v19, v34
	v_fmamk_f32 v34, v83, 0xbf737871, v71
	v_fmac_f32_e32 v71, 0x3f737871, v83
	v_add_f32_e32 v15, v15, v21
	v_fmac_f32_e32 v32, 0x3f167918, v75
	v_fmac_f32_e32 v76, 0xbf167918, v75
	;; [unrolled: 1-line block ×4, first 2 shown]
	v_add_f32_e32 v16, v77, v16
	v_fmac_f32_e32 v32, 0x3e9e377a, v15
	v_fmac_f32_e32 v76, 0x3e9e377a, v15
	v_mul_f32_e32 v14, 0xbe9e377a, v14
	v_fmac_f32_e32 v79, 0x3f167918, v80
	v_add_f32_e32 v23, v56, v39
	v_fmac_f32_e32 v36, 0x3e9e377a, v19
	v_fmac_f32_e32 v62, 0x3e9e377a, v19
	v_add_f32_e32 v19, v20, v22
	v_fmac_f32_e32 v34, 0x3e9e377a, v18
	v_fmac_f32_e32 v71, 0x3e9e377a, v18
	v_add_f32_e32 v16, v16, v17
	v_mul_f32_e32 v17, 0xbf167918, v32
	v_mul_f32_e32 v21, 0xbf167918, v76
	v_mul_f32_e32 v22, 0xbf4f1bbd, v76
	v_fmac_f32_e32 v14, 0x3f737871, v13
	v_mov_b32_e32 v39, 0x190
	v_mov_b32_e32 v13, 2
	v_fmac_f32_e32 v82, 0xbf167918, v83
	v_fmac_f32_e32 v79, 0x3e9e377a, v74
	;; [unrolled: 1-line block ×6, first 2 shown]
	v_mul_u32_u24_sdwa v6, v6, v39 dst_sel:DWORD dst_unused:UNUSED_PAD src0_sel:WORD_0 src1_sel:DWORD
	v_lshlrev_b32_sdwa v8, v13, v8 dst_sel:DWORD dst_unused:UNUSED_PAD src0_sel:DWORD src1_sel:BYTE_0
	v_fmac_f32_e32 v46, 0x3e9e377a, v87
	v_fmac_f32_e32 v84, 0xbf167918, v85
	;; [unrolled: 1-line block ×3, first 2 shown]
	v_mul_f32_e32 v15, 0xbf737871, v79
	v_add_f32_e32 v37, v4, v52
	v_sub_f32_e32 v4, v4, v52
	v_add_f32_e32 v52, v48, v43
	v_add_f32_e32 v16, v16, v35
	;; [unrolled: 1-line block ×3, first 2 shown]
	v_sub_f32_e32 v17, v61, v17
	v_add_f32_e32 v35, v57, v21
	v_sub_f32_e32 v21, v57, v21
	v_add_f32_e32 v56, v62, v14
	;; [unrolled: 2-line block ×3, first 2 shown]
	v_sub_f32_e32 v62, v64, v22
	v_add3_u32 v64, 0, v6, v8
	v_mul_u32_u24_e32 v6, 0x190, v7
	v_lshlrev_b32_sdwa v7, v13, v9 dst_sel:DWORD dst_unused:UNUSED_PAD src0_sel:DWORD src1_sel:WORD_0
	v_sub_f32_e32 v43, v48, v43
	v_add_f32_e32 v48, v66, v46
	v_fmac_f32_e32 v84, 0x3e9e377a, v69
	v_mul_f32_e32 v18, 0x3f4f1bbd, v32
	v_mul_f32_e32 v20, 0x3e9e377a, v79
	v_fmac_f32_e32 v15, 0x3e9e377a, v82
	v_sub_f32_e32 v46, v66, v46
	v_add_f32_e32 v32, v50, v19
	s_barrier
	buffer_gl0_inv
	ds_write2_b32 v64, v37, v52 offset1:10
	v_add3_u32 v37, 0, v6, v7
	v_fmac_f32_e32 v18, 0x3f167918, v34
	v_fmac_f32_e32 v20, 0x3f737871, v82
	v_sub_f32_e32 v19, v50, v19
	v_add_f32_e32 v34, v84, v15
	v_sub_f32_e32 v15, v84, v15
	ds_write2_b32 v64, v48, v53 offset0:20 offset1:30
	ds_write2_b32 v64, v49, v4 offset0:40 offset1:50
	;; [unrolled: 1-line block ×4, first 2 shown]
	ds_write2_b32 v37, v32, v33 offset1:10
	ds_write2_b32 v37, v34, v63 offset0:20 offset1:30
	ds_write2_b32 v37, v35, v19 offset0:40 offset1:50
	;; [unrolled: 1-line block ×4, first 2 shown]
	v_add_nc_u32_e32 v4, 0xffffff9c, v0
	v_lshrrev_b16 v5, 2, v11
	v_mov_b32_e32 v14, 0x147b
	v_add_f32_e32 v39, v36, v20
	v_sub_f32_e32 v36, v36, v20
	v_cndmask_b32_e64 v20, v4, v0, s0
	v_fmac_f32_e32 v65, 0x3e9e377a, v38
	v_mul_u32_u24_sdwa v5, v5, v14 dst_sel:DWORD dst_unused:UNUSED_PAD src0_sel:WORD_0 src1_sel:DWORD
	v_add_f32_e32 v55, v67, v45
	v_add_f32_e32 v38, v23, v16
	v_mul_i32_i24_e32 v4, 9, v20
	v_sub_f32_e32 v23, v23, v16
	v_lshrrev_b32_e32 v14, 17, v5
	v_mov_b32_e32 v5, 0
	v_add_f32_e32 v16, v65, v18
	v_sub_f32_e32 v45, v67, v45
	s_waitcnt lgkmcnt(0)
	s_barrier
	buffer_gl0_inv
	ds_read2_b32 v[6:7], v1 offset1:200
	ds_read2_b32 v[21:22], v10 offset0:16 offset1:216
	ds_read2_b32 v[34:35], v26 offset0:32 offset1:232
	;; [unrolled: 1-line block ×3, first 2 shown]
	ds_read2_b32 v[73:74], v27 offset1:200
	ds_read2_b32 v[75:76], v24 offset0:16 offset1:216
	ds_read2_b32 v[77:78], v28 offset0:32 offset1:232
	;; [unrolled: 1-line block ×3, first 2 shown]
	ds_read2_b32 v[81:82], v29 offset1:200
	ds_read2_b32 v[8:9], v31 offset0:16 offset1:216
	s_waitcnt lgkmcnt(0)
	s_barrier
	buffer_gl0_inv
	ds_write2_b32 v64, v54, v55 offset1:10
	ds_write2_b32 v64, v58, v59 offset0:20 offset1:30
	ds_write2_b32 v64, v60, v44 offset0:40 offset1:50
	;; [unrolled: 1-line block ×4, first 2 shown]
	ds_write2_b32 v37, v38, v16 offset1:10
	ds_write2_b32 v37, v39, v56 offset0:20 offset1:30
	v_lshlrev_b64 v[15:16], 3, v[4:5]
	v_mul_lo_u16 v17, 0x64, v14
	v_sub_f32_e32 v18, v65, v18
	ds_write2_b32 v37, v61, v23 offset0:40 offset1:50
	ds_write2_b32 v37, v18, v36 offset0:60 offset1:70
	;; [unrolled: 1-line block ×3, first 2 shown]
	v_add_co_u32 v32, s0, s8, v15
	v_add_co_ci_u32_e64 v33, s0, s9, v16, s0
	v_sub_nc_u16 v11, v11, v17
	s_waitcnt lgkmcnt(0)
	s_barrier
	buffer_gl0_inv
	global_load_dwordx4 v[15:18], v[32:33], off offset:720
	v_mul_u32_u24_sdwa v4, v11, v12 dst_sel:DWORD dst_unused:UNUSED_PAD src0_sel:WORD_0 src1_sel:DWORD
	v_cmp_lt_u32_e64 s0, 0x63, v0
	v_lshlrev_b32_e32 v20, 2, v20
	v_lshlrev_b32_sdwa v11, v13, v11 dst_sel:DWORD dst_unused:UNUSED_PAD src0_sel:DWORD src1_sel:WORD_0
	v_mul_u32_u24_e32 v14, 0xfa0, v14
	v_lshlrev_b32_e32 v4, 3, v4
	s_clause 0x8
	global_load_dwordx4 v[38:41], v4, s[8:9] offset:720
	global_load_dwordx4 v[45:48], v[32:33], off offset:736
	global_load_dwordx4 v[53:56], v4, s[8:9] offset:736
	global_load_dwordx4 v[57:60], v[32:33], off offset:752
	;; [unrolled: 2-line block ×3, first 2 shown]
	global_load_dwordx4 v[69:72], v4, s[8:9] offset:768
	global_load_dwordx2 v[83:84], v[32:33], off offset:784
	global_load_dwordx2 v[85:86], v4, s[8:9] offset:784
	ds_read2_b32 v[36:37], v10 offset0:16 offset1:216
	ds_read2_b32 v[42:43], v26 offset0:32 offset1:232
	;; [unrolled: 1-line block ×3, first 2 shown]
	ds_read2_b32 v[89:90], v27 offset1:200
	s_waitcnt vmcnt(9)
	v_mul_f32_e32 v4, v21, v16
	s_waitcnt lgkmcnt(3)
	v_mul_f32_e32 v32, v36, v16
	s_waitcnt lgkmcnt(2)
	v_mul_f32_e32 v10, v42, v18
	v_mul_f32_e32 v12, v34, v18
	s_waitcnt vmcnt(8)
	v_mul_f32_e32 v33, v37, v39
	v_fma_f32 v36, v36, v15, -v4
	v_mul_f32_e32 v4, v22, v39
	v_fmac_f32_e32 v10, v34, v17
	v_fmac_f32_e32 v32, v21, v15
	v_fma_f32 v44, v42, v17, -v12
	v_mul_f32_e32 v39, v43, v41
	v_fma_f32 v34, v37, v38, -v4
	v_mul_f32_e32 v4, v35, v41
	v_fmac_f32_e32 v33, v22, v38
	ds_read2_b32 v[22:23], v28 offset0:32 offset1:232
	s_waitcnt vmcnt(7)
	v_mul_f32_e32 v15, v49, v46
	s_waitcnt lgkmcnt(1)
	v_mul_f32_e32 v12, v89, v48
	v_fma_f32 v4, v43, v40, -v4
	v_mul_f32_e32 v18, v73, v48
	s_waitcnt vmcnt(6)
	v_mul_f32_e32 v43, v90, v56
	ds_read2_b32 v[16:17], v24 offset0:16 offset1:216
	v_fmac_f32_e32 v39, v35, v40
	v_mul_f32_e32 v52, v87, v46
	v_fma_f32 v51, v87, v45, -v15
	v_fmac_f32_e32 v12, v73, v47
	v_mul_f32_e32 v15, v50, v54
	v_fma_f32 v46, v89, v47, -v18
	ds_read2_b32 v[40:41], v30 offset0:48 offset1:248
	v_mul_f32_e32 v18, v74, v56
	v_fmac_f32_e32 v43, v74, v55
	ds_read2_b32 v[73:74], v29 offset1:200
	v_mul_f32_e32 v19, v88, v54
	v_fma_f32 v21, v88, v53, -v15
	ds_read2_b32 v[87:88], v31 offset0:16 offset1:216
	s_waitcnt vmcnt(5)
	v_mul_f32_e32 v38, v77, v60
	v_mul_f32_e32 v37, v75, v58
	v_fma_f32 v35, v90, v55, -v18
	s_waitcnt vmcnt(4)
	v_mul_f32_e32 v18, v76, v62
	v_fmac_f32_e32 v52, v49, v45
	s_waitcnt lgkmcnt(4)
	v_fma_f32 v48, v22, v59, -v38
	v_mul_f32_e32 v38, v78, v64
	v_fmac_f32_e32 v19, v50, v53
	s_waitcnt lgkmcnt(3)
	v_mul_f32_e32 v54, v16, v58
	v_mul_f32_e32 v15, v22, v60
	v_fma_f32 v16, v16, v57, -v37
	v_mul_f32_e32 v22, v17, v62
	v_mul_f32_e32 v45, v23, v64
	v_fma_f32 v37, v17, v61, -v18
	v_fma_f32 v38, v23, v63, -v38
	s_waitcnt vmcnt(3)
	v_mul_f32_e32 v17, v79, v66
	v_mul_f32_e32 v23, v81, v68
	s_waitcnt vmcnt(2) lgkmcnt(2)
	v_mul_f32_e32 v50, v41, v70
	v_mul_f32_e32 v42, v80, v70
	s_waitcnt lgkmcnt(1)
	v_mul_f32_e32 v47, v74, v72
	v_fmac_f32_e32 v22, v76, v61
	v_mul_f32_e32 v55, v40, v66
	v_fmac_f32_e32 v45, v78, v63
	v_fma_f32 v17, v40, v65, -v17
	v_fma_f32 v49, v73, v67, -v23
	v_fmac_f32_e32 v50, v80, v69
	v_fma_f32 v40, v41, v69, -v42
	v_mul_f32_e32 v41, v82, v72
	s_waitcnt vmcnt(0) lgkmcnt(0)
	v_mul_f32_e32 v23, v88, v86
	v_mul_f32_e32 v53, v9, v86
	v_fmac_f32_e32 v47, v82, v71
	v_fmac_f32_e32 v54, v75, v57
	v_fma_f32 v42, v74, v71, -v41
	v_fmac_f32_e32 v23, v9, v85
	v_fma_f32 v41, v88, v85, -v53
	v_add_f32_e32 v9, v43, v45
	v_add_f32_e32 v53, v39, v47
	;; [unrolled: 1-line block ×3, first 2 shown]
	v_mul_f32_e32 v18, v73, v68
	v_add_f32_e32 v63, v7, v39
	v_fma_f32 v9, -0.5, v9, v7
	v_fmac_f32_e32 v7, -0.5, v53
	v_fma_f32 v53, -0.5, v57, v33
	v_add_f32_e32 v57, v37, v40
	v_add_f32_e32 v66, v21, v41
	v_fmac_f32_e32 v15, v77, v59
	v_fmac_f32_e32 v18, v81, v67
	v_add_f32_e32 v59, v19, v23
	v_fma_f32 v57, -0.5, v57, v34
	v_add_f32_e32 v58, v34, v21
	v_sub_f32_e32 v67, v37, v21
	v_sub_f32_e32 v68, v40, v41
	v_fmac_f32_e32 v34, -0.5, v66
	v_sub_f32_e32 v66, v22, v50
	v_fmac_f32_e32 v55, v79, v65
	v_add_f32_e32 v64, v33, v19
	v_sub_f32_e32 v60, v22, v19
	v_sub_f32_e32 v65, v50, v23
	v_fmac_f32_e32 v33, -0.5, v59
	v_add_f32_e32 v67, v67, v68
	v_sub_f32_e32 v68, v37, v40
	v_fmamk_f32 v59, v66, 0xbf737871, v34
	v_fmac_f32_e32 v34, 0x3f737871, v66
	v_sub_f32_e32 v69, v19, v23
	v_add_f32_e32 v65, v60, v65
	v_sub_f32_e32 v70, v35, v38
	v_fmamk_f32 v60, v68, 0x3f737871, v33
	v_fmac_f32_e32 v33, 0xbf737871, v68
	v_sub_f32_e32 v71, v21, v41
	v_fmac_f32_e32 v34, 0xbf167918, v69
	v_sub_f32_e32 v61, v43, v39
	v_sub_f32_e32 v62, v45, v47
	v_fmamk_f32 v72, v70, 0x3f737871, v7
	v_fmac_f32_e32 v7, 0xbf737871, v70
	v_sub_f32_e32 v73, v4, v42
	v_fmac_f32_e32 v33, 0x3f167918, v71
	v_fmac_f32_e32 v34, 0x3e9e377a, v67
	v_mul_f32_e32 v56, v87, v84
	v_add_f32_e32 v74, v61, v62
	v_fmac_f32_e32 v7, 0x3f167918, v73
	v_fmac_f32_e32 v33, 0x3e9e377a, v65
	v_mul_f32_e32 v61, 0xbf737871, v34
	v_add_f32_e32 v62, v12, v15
	v_fmac_f32_e32 v56, v8, v83
	v_mul_f32_e32 v8, v8, v84
	v_fmac_f32_e32 v7, 0x3e9e377a, v74
	v_fmac_f32_e32 v61, 0xbe9e377a, v33
	v_fma_f32 v76, -0.5, v62, v6
	v_sub_f32_e32 v62, v10, v12
	v_sub_f32_e32 v77, v18, v15
	v_fma_f32 v8, v87, v83, -v8
	v_add_f32_e32 v78, v7, v61
	v_sub_f32_e32 v7, v7, v61
	v_sub_f32_e32 v61, v52, v54
	v_add_f32_e32 v77, v62, v77
	v_sub_f32_e32 v62, v56, v55
	v_sub_f32_e32 v79, v51, v16
	;; [unrolled: 1-line block ×3, first 2 shown]
	v_add_f32_e32 v75, v10, v18
	v_sub_f32_e32 v92, v46, v48
	v_add_f32_e32 v83, v61, v62
	v_add_f32_e32 v61, v54, v55
	v_add_f32_e32 v79, v79, v80
	v_fma_f32 v75, -0.5, v75, v6
	v_add_f32_e32 v81, v16, v17
	v_sub_f32_e32 v84, v52, v56
	v_fma_f32 v80, -0.5, v61, v32
	v_add_f32_e32 v61, v32, v52
	v_sub_f32_e32 v85, v44, v49
	v_sub_f32_e32 v88, v54, v55
	;; [unrolled: 1-line block ×4, first 2 shown]
	v_add_f32_e32 v61, v61, v54
	v_fmamk_f32 v96, v92, 0x3f737871, v75
	v_fmac_f32_e32 v75, 0xbf737871, v92
	v_add_f32_e32 v97, v52, v56
	v_sub_f32_e32 v52, v54, v52
	v_add_f32_e32 v61, v61, v55
	v_sub_f32_e32 v54, v55, v56
	v_add_f32_e32 v55, v51, v8
	v_fma_f32 v81, -0.5, v81, v36
	v_add_f32_e32 v94, v94, v95
	v_fmac_f32_e32 v96, 0xbf167918, v85
	v_fmac_f32_e32 v75, 0x3f167918, v85
	v_add_f32_e32 v52, v52, v54
	v_add_f32_e32 v54, v36, v51
	v_fmac_f32_e32 v36, -0.5, v55
	v_sub_f32_e32 v86, v51, v8
	v_fmamk_f32 v87, v84, 0x3f737871, v81
	v_cndmask_b32_e64 v82, 0, 0xfa0, s0
	v_sub_f32_e32 v90, v16, v17
	v_fmac_f32_e32 v32, -0.5, v97
	v_fmac_f32_e32 v96, 0x3e9e377a, v94
	v_fmac_f32_e32 v75, 0x3e9e377a, v94
	v_sub_f32_e32 v51, v16, v51
	v_sub_f32_e32 v55, v17, v8
	v_fmamk_f32 v94, v88, 0xbf737871, v36
	v_fmac_f32_e32 v36, 0x3f737871, v88
	v_fmac_f32_e32 v81, 0xbf737871, v84
	v_add_f32_e32 v6, v6, v10
	v_fmamk_f32 v89, v86, 0xbf737871, v80
	v_fmac_f32_e32 v87, 0x3f167918, v88
	v_add3_u32 v82, 0, v82, v20
	v_add_f32_e32 v20, v61, v56
	v_fmamk_f32 v56, v90, 0x3f737871, v32
	v_fmac_f32_e32 v32, 0xbf737871, v90
	v_add_f32_e32 v51, v51, v55
	v_fmac_f32_e32 v94, 0x3f167918, v84
	v_fmac_f32_e32 v36, 0xbf167918, v84
	;; [unrolled: 1-line block ×4, first 2 shown]
	v_add_f32_e32 v6, v6, v12
	v_fmamk_f32 v91, v85, 0xbf737871, v76
	v_fmac_f32_e32 v89, 0xbf167918, v90
	v_fmac_f32_e32 v87, 0x3e9e377a, v79
	;; [unrolled: 1-line block ×9, first 2 shown]
	v_add_f32_e32 v6, v6, v15
	v_fmac_f32_e32 v91, 0xbf167918, v92
	v_fmac_f32_e32 v89, 0x3e9e377a, v83
	v_mul_f32_e32 v93, 0xbf167918, v87
	v_fmac_f32_e32 v56, 0x3e9e377a, v52
	v_fmac_f32_e32 v32, 0x3e9e377a, v52
	v_mul_f32_e32 v51, 0xbf737871, v94
	v_mul_f32_e32 v52, 0xbf737871, v36
	v_fmac_f32_e32 v76, 0x3f167918, v92
	v_fmac_f32_e32 v80, 0x3e9e377a, v83
	v_mul_f32_e32 v55, 0xbf167918, v81
	v_add_f32_e32 v6, v6, v18
	v_fmac_f32_e32 v91, 0x3e9e377a, v77
	v_fmac_f32_e32 v93, 0x3f4f1bbd, v89
	v_fmac_f32_e32 v51, 0x3e9e377a, v56
	v_fmac_f32_e32 v52, 0xbe9e377a, v32
	v_fmac_f32_e32 v76, 0x3e9e377a, v77
	v_fmac_f32_e32 v55, 0xbf4f1bbd, v80
	v_add_f32_e32 v98, v6, v20
	v_add_f32_e32 v79, v91, v93
	;; [unrolled: 1-line block ×4, first 2 shown]
	v_add_nc_u32_e32 v84, 0x200, v82
	v_sub_f32_e32 v6, v6, v20
	v_add_f32_e32 v20, v76, v55
	v_add_nc_u32_e32 v85, 0x400, v82
	v_sub_f32_e32 v86, v91, v93
	v_sub_f32_e32 v51, v96, v51
	v_add_nc_u32_e32 v88, 0x800, v82
	ds_read2_b32 v[61:62], v1 offset1:200
	s_waitcnt lgkmcnt(0)
	s_barrier
	buffer_gl0_inv
	ds_write2_b32 v82, v98, v79 offset1:100
	ds_write2_b32 v84, v77, v83 offset0:72 offset1:172
	ds_write2_b32 v85, v20, v6 offset0:144 offset1:244
	;; [unrolled: 1-line block ×3, first 2 shown]
	v_sub_f32_e32 v6, v75, v52
	v_add_f32_e32 v51, v64, v22
	v_sub_f32_e32 v52, v39, v43
	v_sub_f32_e32 v64, v47, v45
	;; [unrolled: 1-line block ×4, first 2 shown]
	v_add_f32_e32 v22, v51, v50
	v_sub_f32_e32 v51, v41, v40
	v_add_f32_e32 v52, v52, v64
	v_fmamk_f32 v64, v69, 0x3f737871, v57
	v_fmac_f32_e32 v57, 0xbf737871, v69
	v_sub_f32_e32 v50, v23, v50
	v_add_f32_e32 v21, v21, v51
	v_fmamk_f32 v75, v71, 0xbf737871, v53
	v_fmac_f32_e32 v64, 0x3f167918, v66
	v_add_f32_e32 v13, v63, v43
	v_fmac_f32_e32 v59, 0x3f167918, v69
	v_fmac_f32_e32 v53, 0x3f737871, v71
	;; [unrolled: 1-line block ×3, first 2 shown]
	v_add_f32_e32 v22, v22, v23
	v_add_f32_e32 v19, v19, v50
	v_fmamk_f32 v23, v73, 0xbf737871, v9
	v_fmac_f32_e32 v75, 0xbf167918, v68
	v_fmac_f32_e32 v64, 0x3e9e377a, v21
	v_add_f32_e32 v13, v13, v45
	v_fmac_f32_e32 v60, 0xbf167918, v71
	v_fmac_f32_e32 v59, 0x3e9e377a, v67
	;; [unrolled: 1-line block ×7, first 2 shown]
	v_mul_f32_e32 v50, 0xbf167918, v64
	v_add3_u32 v63, 0, v14, v11
	v_add_f32_e32 v11, v13, v47
	v_fmac_f32_e32 v72, 0xbf167918, v73
	v_fmac_f32_e32 v60, 0x3e9e377a, v65
	v_mul_f32_e32 v13, 0xbf737871, v59
	v_fmac_f32_e32 v9, 0x3f167918, v70
	v_fmac_f32_e32 v53, 0x3e9e377a, v19
	v_mul_f32_e32 v14, 0xbf167918, v57
	v_fmac_f32_e32 v23, 0x3e9e377a, v52
	v_fmac_f32_e32 v50, 0x3f4f1bbd, v75
	;; [unrolled: 1-line block ×6, first 2 shown]
	v_sub_f32_e32 v20, v76, v55
	v_add_nc_u32_e32 v55, 0xc00, v82
	v_add_f32_e32 v19, v11, v22
	v_add_f32_e32 v21, v23, v50
	;; [unrolled: 1-line block ×3, first 2 shown]
	v_add_nc_u32_e32 v65, 0x200, v63
	v_sub_f32_e32 v11, v11, v22
	v_add_f32_e32 v22, v9, v14
	v_add_nc_u32_e32 v66, 0x400, v63
	v_sub_f32_e32 v23, v23, v50
	v_sub_f32_e32 v13, v72, v13
	v_add_nc_u32_e32 v67, 0x800, v63
	ds_write2_b32 v55, v6, v20 offset0:32 offset1:132
	ds_write2_b32 v63, v19, v21 offset1:100
	ds_write2_b32 v65, v51, v78 offset0:72 offset1:172
	ds_write2_b32 v66, v22, v11 offset0:144 offset1:244
	;; [unrolled: 1-line block ×3, first 2 shown]
	v_sub_f32_e32 v6, v9, v14
	v_add_f32_e32 v9, v46, v48
	v_add_f32_e32 v11, v54, v16
	v_sub_f32_e32 v54, v10, v18
	v_add_f32_e32 v10, v61, v44
	v_add_f32_e32 v18, v44, v49
	v_fma_f32 v69, -0.5, v9, v61
	v_sub_f32_e32 v9, v44, v46
	v_sub_f32_e32 v13, v49, v48
	;; [unrolled: 1-line block ×3, first 2 shown]
	v_add_f32_e32 v10, v10, v46
	v_fma_f32 v61, -0.5, v18, v61
	v_sub_f32_e32 v44, v46, v44
	v_add_f32_e32 v72, v9, v13
	v_sub_f32_e32 v46, v48, v49
	v_add_f32_e32 v9, v10, v48
	v_fmamk_f32 v48, v70, 0xbf737871, v61
	v_fmac_f32_e32 v61, 0x3f737871, v70
	v_add_f32_e32 v77, v35, v38
	v_add_f32_e32 v44, v44, v46
	;; [unrolled: 1-line block ×3, first 2 shown]
	v_fmac_f32_e32 v48, 0x3f167918, v54
	v_fmac_f32_e32 v61, 0xbf167918, v54
	v_mul_f32_e32 v49, 0x3e9e377a, v94
	v_mul_f32_e32 v36, 0xbe9e377a, v36
	v_fmamk_f32 v71, v54, 0x3f737871, v69
	v_fmac_f32_e32 v48, 0x3e9e377a, v44
	v_fmac_f32_e32 v61, 0x3e9e377a, v44
	v_add_f32_e32 v44, v4, v42
	v_fmac_f32_e32 v49, 0x3f737871, v56
	v_sub_f32_e32 v43, v43, v45
	v_fma_f32 v45, -0.5, v77, v62
	v_add_f32_e32 v56, v62, v4
	v_fmac_f32_e32 v62, -0.5, v44
	v_sub_f32_e32 v39, v39, v47
	v_sub_f32_e32 v44, v35, v4
	;; [unrolled: 1-line block ×3, first 2 shown]
	v_fmac_f32_e32 v36, 0x3f737871, v32
	v_add_f32_e32 v11, v11, v17
	v_mul_f32_e32 v73, 0x3f4f1bbd, v87
	v_fmac_f32_e32 v71, 0x3f167918, v70
	v_add_nc_u32_e32 v68, 0xc00, v63
	v_lshl_add_u32 v52, v0, 2, 0
	v_add_f32_e32 v44, v44, v47
	v_add_f32_e32 v47, v48, v49
	v_fmac_f32_e32 v69, 0xbf737871, v54
	v_add_f32_e32 v54, v61, v36
	v_add_f32_e32 v74, v11, v8
	v_fmac_f32_e32 v73, 0x3f167918, v89
	v_fmac_f32_e32 v71, 0x3e9e377a, v72
	ds_write2_b32 v68, v7, v6 offset0:32 offset1:132
	s_waitcnt lgkmcnt(0)
	s_barrier
	buffer_gl0_inv
	ds_read_b32 v50, v1 offset:1600
	ds_read_b32 v51, v52 offset:2400
	ds_read2_b32 v[6:7], v1 offset1:200
	ds_read2_b32 v[10:11], v26 offset0:32 offset1:232
	ds_read2_b32 v[8:9], v24 offset0:16 offset1:216
	;; [unrolled: 1-line block ×4, first 2 shown]
	ds_read2_b32 v[14:15], v29 offset1:200
	ds_read2_b32 v[16:17], v28 offset0:32 offset1:232
	ds_read2_b32 v[20:21], v27 offset1:200
	ds_read2_b32 v[18:19], v31 offset0:16 offset1:216
	s_waitcnt lgkmcnt(0)
	s_barrier
	buffer_gl0_inv
	ds_write2_b32 v84, v47, v54 offset0:72 offset1:172
	v_add_f32_e32 v54, v56, v35
	v_sub_f32_e32 v4, v4, v35
	v_sub_f32_e32 v35, v42, v38
	v_fmamk_f32 v56, v39, 0x3f737871, v45
	v_fmac_f32_e32 v45, 0xbf737871, v39
	v_add_f32_e32 v46, v76, v74
	v_add_f32_e32 v32, v71, v73
	v_add_f32_e32 v38, v54, v38
	v_add_f32_e32 v37, v58, v37
	v_fmamk_f32 v77, v43, 0xbf737871, v62
	v_fmac_f32_e32 v62, 0x3f737871, v43
	v_add_f32_e32 v4, v4, v35
	v_fmac_f32_e32 v56, 0x3f167918, v43
	v_fmac_f32_e32 v45, 0xbf167918, v43
	ds_write2_b32 v82, v46, v32 offset1:100
	v_fmac_f32_e32 v69, 0xbf167918, v70
	v_mul_f32_e32 v32, 0xbf4f1bbd, v81
	v_add_f32_e32 v35, v37, v40
	v_add_f32_e32 v37, v38, v42
	v_mul_f32_e32 v38, 0x3f4f1bbd, v64
	v_mul_f32_e32 v34, 0xbe9e377a, v34
	v_fmac_f32_e32 v62, 0xbf167918, v39
	v_fmac_f32_e32 v77, 0x3f167918, v39
	;; [unrolled: 1-line block ×4, first 2 shown]
	v_mul_f32_e32 v4, 0x3e9e377a, v59
	v_fmac_f32_e32 v69, 0x3e9e377a, v72
	v_fmac_f32_e32 v32, 0x3f167918, v80
	v_mul_f32_e32 v39, 0xbf4f1bbd, v57
	v_add_f32_e32 v35, v35, v41
	v_fmac_f32_e32 v38, 0x3f167918, v75
	v_fmac_f32_e32 v34, 0x3f737871, v33
	;; [unrolled: 1-line block ×5, first 2 shown]
	v_sub_f32_e32 v46, v76, v74
	v_sub_f32_e32 v48, v48, v49
	v_add_f32_e32 v49, v69, v32
	v_fmac_f32_e32 v39, 0x3f167918, v53
	v_sub_f32_e32 v47, v71, v73
	v_sub_f32_e32 v36, v61, v36
	;; [unrolled: 1-line block ×3, first 2 shown]
	v_add_f32_e32 v40, v37, v35
	v_add_f32_e32 v41, v56, v38
	;; [unrolled: 1-line block ×3, first 2 shown]
	v_sub_f32_e32 v35, v37, v35
	v_add_f32_e32 v37, v77, v4
	v_sub_f32_e32 v34, v62, v34
	v_sub_f32_e32 v38, v56, v38
	v_add_f32_e32 v42, v45, v39
	v_sub_f32_e32 v4, v77, v4
	v_sub_f32_e32 v39, v45, v39
	ds_write2_b32 v85, v49, v46 offset0:144 offset1:244
	ds_write2_b32 v88, v47, v48 offset0:88 offset1:188
	;; [unrolled: 1-line block ×3, first 2 shown]
	ds_write2_b32 v63, v40, v41 offset1:100
	ds_write2_b32 v65, v37, v33 offset0:72 offset1:172
	ds_write2_b32 v66, v42, v35 offset0:144 offset1:244
	;; [unrolled: 1-line block ×4, first 2 shown]
	s_waitcnt lgkmcnt(0)
	s_barrier
	buffer_gl0_inv
	s_and_saveexec_b32 s0, vcc_lo
	s_cbranch_execz .LBB0_13
; %bb.12:
	v_mul_u32_u24_e32 v4, 3, v0
	v_add_nc_u32_e32 v89, 0x320, v0
	v_add_nc_u32_e32 v85, 0x258, v0
	v_lshlrev_b32_e32 v4, 3, v4
	v_mul_u32_u24_e32 v35, 3, v89
	v_mul_hi_u32 v75, 0x10624dd3, v85
	v_mul_hi_u32 v76, 0x10624dd3, v89
	v_add_co_u32 v4, s0, s8, v4
	v_add_co_ci_u32_e64 v34, null, s9, 0, s0
	v_lshlrev_b32_e32 v38, 3, v35
	v_add_co_u32 v32, vcc_lo, 0x1800, v4
	v_add_co_ci_u32_e32 v33, vcc_lo, 0, v34, vcc_lo
	v_add_co_u32 v36, vcc_lo, 0x1ef0, v4
	v_mad_u32_u24 v4, v89, 3, 0xfffffda8
	v_add_co_u32 v42, s0, s8, v38
	v_add_co_ci_u32_e32 v37, vcc_lo, 0, v34, vcc_lo
	v_add_co_ci_u32_e64 v43, null, s9, 0, s0
	v_lshlrev_b64 v[40:41], 3, v[4:5]
	v_mad_u32_u24 v4, v89, 3, 0xfffffb50
	s_clause 0x1
	global_load_dwordx4 v[32:35], v[32:33], off offset:1776
	global_load_dwordx2 v[48:49], v[36:37], off offset:16
	v_add_co_u32 v36, vcc_lo, 0x1800, v42
	v_add_co_ci_u32_e32 v37, vcc_lo, 0, v43, vcc_lo
	v_lshlrev_b64 v[44:45], 3, v[4:5]
	v_add_co_u32 v4, vcc_lo, s8, v40
	v_add_co_ci_u32_e32 v47, vcc_lo, s9, v41, vcc_lo
	v_add_co_u32 v40, vcc_lo, 0x1ef0, v42
	v_add_co_ci_u32_e32 v41, vcc_lo, 0, v43, vcc_lo
	;; [unrolled: 2-line block ×4, first 2 shown]
	v_add_co_u32 v4, vcc_lo, s8, v44
	s_clause 0x3
	global_load_dwordx4 v[36:39], v[36:37], off offset:1776
	global_load_dwordx2 v[57:58], v[40:41], off offset:16
	global_load_dwordx4 v[40:43], v[42:43], off offset:1776
	global_load_dwordx2 v[59:60], v[46:47], off offset:16
	v_add_co_ci_u32_e32 v46, vcc_lo, s9, v45, vcc_lo
	v_add_co_u32 v44, vcc_lo, 0x1800, v4
	v_lshrrev_b32_e32 v86, 6, v75
	v_add_co_ci_u32_e32 v45, vcc_lo, 0, v46, vcc_lo
	v_add_co_u32 v53, vcc_lo, 0x1ef0, v4
	v_add_co_ci_u32_e32 v54, vcc_lo, 0, v46, vcc_lo
	v_mad_u32_u24 v4, v89, 3, 0xfffff8f8
	global_load_dwordx4 v[44:47], v[44:45], off offset:1776
	v_lshrrev_b32_e32 v90, 6, v76
	global_load_dwordx2 v[61:62], v[53:54], off offset:16
	v_lshlrev_b64 v[53:54], 3, v[4:5]
	v_add_co_u32 v4, vcc_lo, s8, v53
	v_add_co_ci_u32_e32 v55, vcc_lo, s9, v54, vcc_lo
	v_add_co_u32 v53, vcc_lo, 0x1800, v4
	v_add_co_ci_u32_e32 v54, vcc_lo, 0, v55, vcc_lo
	;; [unrolled: 2-line block ×3, first 2 shown]
	s_clause 0x1
	global_load_dwordx4 v[53:56], v[53:54], off offset:1776
	global_load_dwordx2 v[63:64], v[63:64], off offset:16
	ds_read2_b32 v[65:66], v26 offset0:32 offset1:232
	ds_read2_b32 v[67:68], v30 offset0:48 offset1:248
	ds_read2_b32 v[26:27], v27 offset1:200
	ds_read2_b32 v[30:31], v31 offset0:16 offset1:216
	ds_read2_b32 v[69:70], v28 offset0:32 offset1:232
	ds_read_b32 v52, v52 offset:2400
	ds_read_b32 v101, v1 offset:1600
	ds_read2_b32 v[71:72], v25 offset0:48 offset1:248
	ds_read2_b32 v[28:29], v29 offset1:200
	ds_read2_b32 v[73:74], v1 offset1:200
	v_mov_b32_e32 v1, v5
	v_add_nc_u32_e32 v4, 0x190, v0
	v_add_co_u32 v102, vcc_lo, s2, v2
	v_add_co_ci_u32_e32 v103, vcc_lo, s3, v3, vcc_lo
	v_lshlrev_b64 v[0:1], 3, v[0:1]
	v_mul_hi_u32 v25, 0x10624dd3, v4
	ds_read2_b32 v[2:3], v24 offset0:16 offset1:216
	v_add_co_u32 v0, vcc_lo, v102, v0
	v_add_co_ci_u32_e32 v1, vcc_lo, v103, v1, vcc_lo
	v_lshrrev_b32_e32 v81, 6, v25
	v_add_co_u32 v24, vcc_lo, 0x1800, v0
	v_add_co_ci_u32_e32 v25, vcc_lo, 0, v1, vcc_lo
	v_add_co_u32 v75, vcc_lo, 0x3800, v0
	v_add_co_ci_u32_e32 v76, vcc_lo, 0, v1, vcc_lo
	v_add_co_u32 v77, vcc_lo, 0x5800, v0
	v_mad_u32_u24 v4, 0xbb8, v81, v4
	v_add_co_ci_u32_e32 v78, vcc_lo, 0, v1, vcc_lo
	v_add_co_u32 v79, vcc_lo, 0x2000, v0
	v_add_co_ci_u32_e32 v80, vcc_lo, 0, v1, vcc_lo
	v_add_co_u32 v81, vcc_lo, 0x4000, v0
	v_lshlrev_b64 v[83:84], 3, v[4:5]
	v_add_co_ci_u32_e32 v82, vcc_lo, 0, v1, vcc_lo
	v_mad_u32_u24 v4, 0xbb8, v86, v85
	v_add_co_u32 v85, vcc_lo, 0x6000, v0
	v_add_co_ci_u32_e32 v86, vcc_lo, 0, v1, vcc_lo
	v_add_co_u32 v83, vcc_lo, v102, v83
	v_add_co_ci_u32_e32 v84, vcc_lo, v103, v84, vcc_lo
	v_lshlrev_b64 v[87:88], 3, v[4:5]
	v_mad_u32_u24 v4, 0xbb8, v90, v89
	v_add_co_u32 v89, vcc_lo, 0x1800, v83
	v_add_co_ci_u32_e32 v90, vcc_lo, 0, v84, vcc_lo
	v_add_co_u32 v91, vcc_lo, 0x3800, v83
	v_add_co_ci_u32_e32 v92, vcc_lo, 0, v84, vcc_lo
	;; [unrolled: 2-line block ×5, first 2 shown]
	v_lshlrev_b64 v[4:5], 3, v[4:5]
	v_add_co_u32 v97, vcc_lo, 0x3800, v87
	v_add_co_ci_u32_e32 v98, vcc_lo, 0, v88, vcc_lo
	v_add_co_u32 v99, vcc_lo, 0x5800, v87
	v_add_co_ci_u32_e32 v100, vcc_lo, 0, v88, vcc_lo
	;; [unrolled: 2-line block ×3, first 2 shown]
	s_waitcnt vmcnt(9)
	v_mul_f32_e32 v103, v11, v32
	s_waitcnt vmcnt(8)
	v_mul_f32_e32 v104, v23, v48
	s_waitcnt lgkmcnt(0)
	v_mul_f32_e32 v105, v2, v35
	v_mul_f32_e32 v11, v11, v33
	;; [unrolled: 1-line block ×4, first 2 shown]
	v_fmac_f32_e32 v104, v68, v49
	v_fmac_f32_e32 v105, v8, v34
	v_fma_f32 v8, v66, v32, -v11
	v_fma_f32 v23, v68, v48, -v23
	;; [unrolled: 1-line block ×3, first 2 shown]
	v_fmac_f32_e32 v103, v66, v33
	v_add_co_u32 v32, vcc_lo, 0x1800, v4
	v_sub_f32_e32 v23, v8, v23
	v_sub_f32_e32 v2, v73, v2
	v_add_co_ci_u32_e32 v33, vcc_lo, 0, v5, vcc_lo
	v_add_co_u32 v34, vcc_lo, 0x3800, v4
	v_fma_f32 v8, v8, 2.0, -v23
	v_add_co_ci_u32_e32 v35, vcc_lo, 0, v5, vcc_lo
	s_waitcnt vmcnt(7)
	v_mul_f32_e32 v11, v22, v39
	v_mul_f32_e32 v39, v67, v39
	;; [unrolled: 1-line block ×4, first 2 shown]
	v_add_co_u32 v21, vcc_lo, 0x5800, v4
	v_fma_f32 v11, v67, v38, -v11
	v_fmac_f32_e32 v39, v22, v38
	v_fmac_f32_e32 v48, v27, v37
	v_fma_f32 v27, v27, v36, -v49
	s_waitcnt vmcnt(6)
	v_mul_f32_e32 v36, v19, v57
	v_mul_f32_e32 v19, v19, v58
	s_waitcnt vmcnt(5)
	v_mul_f32_e32 v37, v17, v43
	v_mul_f32_e32 v38, v20, v40
	v_mul_f32_e32 v20, v20, v41
	s_waitcnt vmcnt(4)
	v_mul_f32_e32 v49, v18, v59
	v_mul_f32_e32 v18, v18, v60
	;; [unrolled: 1-line block ×3, first 2 shown]
	v_fmac_f32_e32 v36, v31, v58
	v_fma_f32 v19, v31, v57, -v19
	v_sub_f32_e32 v31, v103, v104
	v_sub_f32_e32 v57, v6, v105
	v_fma_f32 v37, v70, v42, -v37
	v_fmac_f32_e32 v38, v26, v41
	v_fmac_f32_e32 v49, v30, v60
	;; [unrolled: 1-line block ×3, first 2 shown]
	v_fma_f32 v20, v26, v40, -v20
	v_fma_f32 v26, v30, v59, -v18
	s_waitcnt vmcnt(3)
	v_mul_f32_e32 v30, v16, v47
	v_mul_f32_e32 v40, v13, v44
	s_waitcnt vmcnt(2)
	v_mul_f32_e32 v41, v15, v61
	v_mul_f32_e32 v42, v69, v47
	;; [unrolled: 1-line block ×4, first 2 shown]
	v_sub_f32_e32 v47, v65, v11
	v_sub_f32_e32 v36, v48, v36
	;; [unrolled: 1-line block ×5, first 2 shown]
	v_add_f32_e32 v17, v57, v23
	v_fma_f32 v58, v73, 2.0, -v2
	v_fma_f32 v6, v6, 2.0, -v57
	v_fma_f32 v23, v103, 2.0, -v31
	v_sub_f32_e32 v31, v52, v37
	v_sub_f32_e32 v37, v38, v49
	;; [unrolled: 1-line block ×4, first 2 shown]
	v_fma_f32 v30, v69, v46, -v30
	v_fmac_f32_e32 v40, v72, v45
	v_fmac_f32_e32 v41, v29, v62
	;; [unrolled: 1-line block ×3, first 2 shown]
	v_fma_f32 v44, v72, v44, -v13
	v_fma_f32 v29, v29, v61, -v15
	s_waitcnt vmcnt(1)
	v_mul_f32_e32 v45, v9, v56
	v_mul_f32_e32 v46, v12, v53
	s_waitcnt vmcnt(0)
	v_mul_f32_e32 v49, v14, v63
	v_mul_f32_e32 v56, v3, v56
	v_mul_f32_e32 v59, v12, v54
	v_mul_f32_e32 v60, v14, v64
	v_sub_f32_e32 v12, v47, v36
	v_add_f32_e32 v11, v39, v19
	v_fma_f32 v61, v65, 2.0, -v47
	v_fma_f32 v19, v27, 2.0, -v19
	;; [unrolled: 1-line block ×6, first 2 shown]
	v_sub_f32_e32 v16, v58, v8
	v_sub_f32_e32 v15, v6, v23
	global_store_dwordx2 v[77:78], v[17:18], off offset:1472
	v_sub_f32_e32 v18, v31, v37
	v_add_f32_e32 v17, v43, v26
	v_fma_f32 v36, v52, 2.0, -v31
	v_fma_f32 v23, v20, 2.0, -v26
	;; [unrolled: 1-line block ×3, first 2 shown]
	v_sub_f32_e32 v30, v101, v30
	v_sub_f32_e32 v37, v40, v41
	;; [unrolled: 1-line block ×4, first 2 shown]
	v_fma_f32 v41, v3, v55, -v45
	v_fmac_f32_e32 v46, v71, v54
	v_fmac_f32_e32 v49, v28, v64
	;; [unrolled: 1-line block ×3, first 2 shown]
	v_fma_f32 v42, v71, v53, -v59
	v_fma_f32 v28, v28, v63, -v60
	v_fma_f32 v48, v51, 2.0, -v43
	v_fma_f32 v2, v39, 2.0, -v11
	v_sub_f32_e32 v9, v61, v19
	v_sub_f32_e32 v8, v10, v27
	v_fma_f32 v20, v58, 2.0, -v16
	v_fma_f32 v19, v6, 2.0, -v15
	global_store_dwordx2 v[24:25], v[13:14], off offset:1856
	global_store_dwordx2 v[75:76], v[15:16], off offset:1664
	v_fma_f32 v14, v31, 2.0, -v18
	v_fma_f32 v13, v43, 2.0, -v17
	v_sub_f32_e32 v16, v36, v23
	v_sub_f32_e32 v24, v30, v37
	v_add_f32_e32 v23, v38, v29
	v_fma_f32 v6, v101, 2.0, -v30
	v_fma_f32 v29, v44, 2.0, -v29
	;; [unrolled: 1-line block ×4, first 2 shown]
	v_sub_f32_e32 v39, v74, v41
	v_sub_f32_e32 v40, v46, v49
	;; [unrolled: 1-line block ×4, first 2 shown]
	v_fma_f32 v25, v10, 2.0, -v8
	v_fma_f32 v28, v30, 2.0, -v24
	;; [unrolled: 1-line block ×3, first 2 shown]
	v_sub_f32_e32 v30, v6, v29
	v_sub_f32_e32 v29, v31, v37
	;; [unrolled: 1-line block ×3, first 2 shown]
	v_fma_f32 v10, v74, 2.0, -v39
	v_fma_f32 v38, v42, 2.0, -v41
	;; [unrolled: 1-line block ×4, first 2 shown]
	global_store_dwordx2 v[0:1], v[19:20], off
	v_fma_f32 v20, v36, 2.0, -v16
	v_add_f32_e32 v36, v43, v41
	v_sub_f32_e32 v41, v10, v38
	v_sub_f32_e32 v40, v42, v40
	;; [unrolled: 1-line block ×3, first 2 shown]
	v_fma_f32 v39, v39, 2.0, -v37
	v_fma_f32 v38, v43, 2.0, -v36
	global_store_dwordx2 v[85:86], v[36:37], off offset:1024
	global_store_dwordx2 v[93:94], v[23:24], off offset:1472
	v_fma_f32 v24, v10, 2.0, -v41
	v_fma_f32 v23, v42, 2.0, -v40
	v_add_co_ci_u32_e32 v22, vcc_lo, 0, v5, vcc_lo
	v_fma_f32 v3, v47, 2.0, -v12
	v_fma_f32 v26, v61, 2.0, -v9
	;; [unrolled: 1-line block ×5, first 2 shown]
	global_store_dwordx2 v[79:80], v[38:39], off offset:1408
	global_store_dwordx2 v[81:82], v[40:41], off offset:1216
	;; [unrolled: 1-line block ×5, first 2 shown]
	global_store_dwordx2 v[83:84], v[6:7], off
	global_store_dwordx2 v[87:88], v[19:20], off
	global_store_dwordx2 v[95:96], v[13:14], off offset:1856
	global_store_dwordx2 v[97:98], v[15:16], off offset:1664
	;; [unrolled: 1-line block ×3, first 2 shown]
	global_store_dwordx2 v[4:5], v[25:26], off
	global_store_dwordx2 v[32:33], v[2:3], off offset:1856
	global_store_dwordx2 v[34:35], v[8:9], off offset:1664
	;; [unrolled: 1-line block ×3, first 2 shown]
.LBB0_13:
	s_endpgm
	.section	.rodata,"a",@progbits
	.p2align	6, 0x0
	.amdhsa_kernel fft_rtc_back_len4000_factors_10_10_10_4_wgs_200_tpt_200_halfLds_sp_ip_CI_unitstride_sbrr_dirReg
		.amdhsa_group_segment_fixed_size 0
		.amdhsa_private_segment_fixed_size 0
		.amdhsa_kernarg_size 88
		.amdhsa_user_sgpr_count 6
		.amdhsa_user_sgpr_private_segment_buffer 1
		.amdhsa_user_sgpr_dispatch_ptr 0
		.amdhsa_user_sgpr_queue_ptr 0
		.amdhsa_user_sgpr_kernarg_segment_ptr 1
		.amdhsa_user_sgpr_dispatch_id 0
		.amdhsa_user_sgpr_flat_scratch_init 0
		.amdhsa_user_sgpr_private_segment_size 0
		.amdhsa_wavefront_size32 1
		.amdhsa_uses_dynamic_stack 0
		.amdhsa_system_sgpr_private_segment_wavefront_offset 0
		.amdhsa_system_sgpr_workgroup_id_x 1
		.amdhsa_system_sgpr_workgroup_id_y 0
		.amdhsa_system_sgpr_workgroup_id_z 0
		.amdhsa_system_sgpr_workgroup_info 0
		.amdhsa_system_vgpr_workitem_id 0
		.amdhsa_next_free_vgpr 106
		.amdhsa_next_free_sgpr 21
		.amdhsa_reserve_vcc 1
		.amdhsa_reserve_flat_scratch 0
		.amdhsa_float_round_mode_32 0
		.amdhsa_float_round_mode_16_64 0
		.amdhsa_float_denorm_mode_32 3
		.amdhsa_float_denorm_mode_16_64 3
		.amdhsa_dx10_clamp 1
		.amdhsa_ieee_mode 1
		.amdhsa_fp16_overflow 0
		.amdhsa_workgroup_processor_mode 1
		.amdhsa_memory_ordered 1
		.amdhsa_forward_progress 0
		.amdhsa_shared_vgpr_count 0
		.amdhsa_exception_fp_ieee_invalid_op 0
		.amdhsa_exception_fp_denorm_src 0
		.amdhsa_exception_fp_ieee_div_zero 0
		.amdhsa_exception_fp_ieee_overflow 0
		.amdhsa_exception_fp_ieee_underflow 0
		.amdhsa_exception_fp_ieee_inexact 0
		.amdhsa_exception_int_div_zero 0
	.end_amdhsa_kernel
	.text
.Lfunc_end0:
	.size	fft_rtc_back_len4000_factors_10_10_10_4_wgs_200_tpt_200_halfLds_sp_ip_CI_unitstride_sbrr_dirReg, .Lfunc_end0-fft_rtc_back_len4000_factors_10_10_10_4_wgs_200_tpt_200_halfLds_sp_ip_CI_unitstride_sbrr_dirReg
                                        ; -- End function
	.section	.AMDGPU.csdata,"",@progbits
; Kernel info:
; codeLenInByte = 11332
; NumSgprs: 23
; NumVgprs: 106
; ScratchSize: 0
; MemoryBound: 0
; FloatMode: 240
; IeeeMode: 1
; LDSByteSize: 0 bytes/workgroup (compile time only)
; SGPRBlocks: 2
; VGPRBlocks: 13
; NumSGPRsForWavesPerEU: 23
; NumVGPRsForWavesPerEU: 106
; Occupancy: 9
; WaveLimiterHint : 1
; COMPUTE_PGM_RSRC2:SCRATCH_EN: 0
; COMPUTE_PGM_RSRC2:USER_SGPR: 6
; COMPUTE_PGM_RSRC2:TRAP_HANDLER: 0
; COMPUTE_PGM_RSRC2:TGID_X_EN: 1
; COMPUTE_PGM_RSRC2:TGID_Y_EN: 0
; COMPUTE_PGM_RSRC2:TGID_Z_EN: 0
; COMPUTE_PGM_RSRC2:TIDIG_COMP_CNT: 0
	.text
	.p2alignl 6, 3214868480
	.fill 48, 4, 3214868480
	.type	__hip_cuid_35ade96625ac990,@object ; @__hip_cuid_35ade96625ac990
	.section	.bss,"aw",@nobits
	.globl	__hip_cuid_35ade96625ac990
__hip_cuid_35ade96625ac990:
	.byte	0                               ; 0x0
	.size	__hip_cuid_35ade96625ac990, 1

	.ident	"AMD clang version 19.0.0git (https://github.com/RadeonOpenCompute/llvm-project roc-6.4.0 25133 c7fe45cf4b819c5991fe208aaa96edf142730f1d)"
	.section	".note.GNU-stack","",@progbits
	.addrsig
	.addrsig_sym __hip_cuid_35ade96625ac990
	.amdgpu_metadata
---
amdhsa.kernels:
  - .args:
      - .actual_access:  read_only
        .address_space:  global
        .offset:         0
        .size:           8
        .value_kind:     global_buffer
      - .offset:         8
        .size:           8
        .value_kind:     by_value
      - .actual_access:  read_only
        .address_space:  global
        .offset:         16
        .size:           8
        .value_kind:     global_buffer
      - .actual_access:  read_only
        .address_space:  global
        .offset:         24
        .size:           8
        .value_kind:     global_buffer
      - .offset:         32
        .size:           8
        .value_kind:     by_value
      - .actual_access:  read_only
        .address_space:  global
        .offset:         40
        .size:           8
        .value_kind:     global_buffer
      - .actual_access:  read_only
        .address_space:  global
        .offset:         48
        .size:           8
        .value_kind:     global_buffer
      - .offset:         56
        .size:           4
        .value_kind:     by_value
      - .actual_access:  read_only
        .address_space:  global
        .offset:         64
        .size:           8
        .value_kind:     global_buffer
      - .actual_access:  read_only
        .address_space:  global
        .offset:         72
        .size:           8
        .value_kind:     global_buffer
      - .address_space:  global
        .offset:         80
        .size:           8
        .value_kind:     global_buffer
    .group_segment_fixed_size: 0
    .kernarg_segment_align: 8
    .kernarg_segment_size: 88
    .language:       OpenCL C
    .language_version:
      - 2
      - 0
    .max_flat_workgroup_size: 200
    .name:           fft_rtc_back_len4000_factors_10_10_10_4_wgs_200_tpt_200_halfLds_sp_ip_CI_unitstride_sbrr_dirReg
    .private_segment_fixed_size: 0
    .sgpr_count:     23
    .sgpr_spill_count: 0
    .symbol:         fft_rtc_back_len4000_factors_10_10_10_4_wgs_200_tpt_200_halfLds_sp_ip_CI_unitstride_sbrr_dirReg.kd
    .uniform_work_group_size: 1
    .uses_dynamic_stack: false
    .vgpr_count:     106
    .vgpr_spill_count: 0
    .wavefront_size: 32
    .workgroup_processor_mode: 1
amdhsa.target:   amdgcn-amd-amdhsa--gfx1030
amdhsa.version:
  - 1
  - 2
...

	.end_amdgpu_metadata
